;; amdgpu-corpus repo=ROCm/rocFFT kind=compiled arch=gfx1030 opt=O3
	.text
	.amdgcn_target "amdgcn-amd-amdhsa--gfx1030"
	.amdhsa_code_object_version 6
	.protected	fft_rtc_fwd_len1326_factors_17_6_13_wgs_204_tpt_102_halfLds_dp_ip_CI_unitstride_sbrr_R2C_dirReg ; -- Begin function fft_rtc_fwd_len1326_factors_17_6_13_wgs_204_tpt_102_halfLds_dp_ip_CI_unitstride_sbrr_R2C_dirReg
	.globl	fft_rtc_fwd_len1326_factors_17_6_13_wgs_204_tpt_102_halfLds_dp_ip_CI_unitstride_sbrr_R2C_dirReg
	.p2align	8
	.type	fft_rtc_fwd_len1326_factors_17_6_13_wgs_204_tpt_102_halfLds_dp_ip_CI_unitstride_sbrr_R2C_dirReg,@function
fft_rtc_fwd_len1326_factors_17_6_13_wgs_204_tpt_102_halfLds_dp_ip_CI_unitstride_sbrr_R2C_dirReg: ; @fft_rtc_fwd_len1326_factors_17_6_13_wgs_204_tpt_102_halfLds_dp_ip_CI_unitstride_sbrr_R2C_dirReg
; %bb.0:
	s_mov_b64 s[58:59], s[2:3]
	s_mov_b64 s[56:57], s[0:1]
	s_clause 0x2
	s_load_dwordx4 s[8:11], s[4:5], 0x0
	s_load_dwordx2 s[2:3], s[4:5], 0x50
	s_load_dwordx2 s[12:13], s[4:5], 0x18
	v_mul_u32_u24_e32 v1, 0x283, v0
	v_mov_b32_e32 v3, 0
	s_add_u32 s56, s56, s7
	s_addc_u32 s57, s57, 0
	v_lshrrev_b32_e32 v9, 16, v1
	v_mov_b32_e32 v1, 0
	v_mov_b32_e32 v6, v3
	;; [unrolled: 1-line block ×3, first 2 shown]
	v_lshl_add_u32 v5, s6, 1, v9
	s_waitcnt lgkmcnt(0)
	v_cmp_lt_u64_e64 s0, s[10:11], 2
	s_and_b32 vcc_lo, exec_lo, s0
	s_cbranch_vccnz .LBB0_8
; %bb.1:
	s_load_dwordx2 s[0:1], s[4:5], 0x10
	v_mov_b32_e32 v1, 0
	s_add_u32 s6, s12, 8
	v_mov_b32_e32 v2, 0
	s_addc_u32 s7, s13, 0
	s_mov_b64 s[16:17], 1
	s_waitcnt lgkmcnt(0)
	s_add_u32 s14, s0, 8
	s_addc_u32 s15, s1, 0
.LBB0_2:                                ; =>This Inner Loop Header: Depth=1
	s_load_dwordx2 s[18:19], s[14:15], 0x0
                                        ; implicit-def: $vgpr7_vgpr8
	s_mov_b32 s0, exec_lo
	s_waitcnt lgkmcnt(0)
	v_or_b32_e32 v4, s19, v6
	v_cmpx_ne_u64_e32 0, v[3:4]
	s_xor_b32 s1, exec_lo, s0
	s_cbranch_execz .LBB0_4
; %bb.3:                                ;   in Loop: Header=BB0_2 Depth=1
	v_cvt_f32_u32_e32 v4, s18
	v_cvt_f32_u32_e32 v7, s19
	s_sub_u32 s0, 0, s18
	s_subb_u32 s20, 0, s19
	v_fmac_f32_e32 v4, 0x4f800000, v7
	v_rcp_f32_e32 v4, v4
	v_mul_f32_e32 v4, 0x5f7ffffc, v4
	v_mul_f32_e32 v7, 0x2f800000, v4
	v_trunc_f32_e32 v7, v7
	v_fmac_f32_e32 v4, 0xcf800000, v7
	v_cvt_u32_f32_e32 v7, v7
	v_cvt_u32_f32_e32 v4, v4
	v_mul_lo_u32 v8, s0, v7
	v_mul_hi_u32 v10, s0, v4
	v_mul_lo_u32 v11, s20, v4
	v_add_nc_u32_e32 v8, v10, v8
	v_mul_lo_u32 v10, s0, v4
	v_add_nc_u32_e32 v8, v8, v11
	v_mul_hi_u32 v11, v4, v10
	v_mul_lo_u32 v12, v4, v8
	v_mul_hi_u32 v13, v4, v8
	v_mul_hi_u32 v14, v7, v10
	v_mul_lo_u32 v10, v7, v10
	v_mul_hi_u32 v15, v7, v8
	v_mul_lo_u32 v8, v7, v8
	v_add_co_u32 v11, vcc_lo, v11, v12
	v_add_co_ci_u32_e32 v12, vcc_lo, 0, v13, vcc_lo
	v_add_co_u32 v10, vcc_lo, v11, v10
	v_add_co_ci_u32_e32 v10, vcc_lo, v12, v14, vcc_lo
	v_add_co_ci_u32_e32 v11, vcc_lo, 0, v15, vcc_lo
	v_add_co_u32 v8, vcc_lo, v10, v8
	v_add_co_ci_u32_e32 v10, vcc_lo, 0, v11, vcc_lo
	v_add_co_u32 v4, vcc_lo, v4, v8
	v_add_co_ci_u32_e32 v7, vcc_lo, v7, v10, vcc_lo
	v_mul_hi_u32 v8, s0, v4
	v_mul_lo_u32 v11, s20, v4
	v_mul_lo_u32 v10, s0, v7
	v_add_nc_u32_e32 v8, v8, v10
	v_mul_lo_u32 v10, s0, v4
	v_add_nc_u32_e32 v8, v8, v11
	v_mul_hi_u32 v11, v4, v10
	v_mul_lo_u32 v12, v4, v8
	v_mul_hi_u32 v13, v4, v8
	v_mul_hi_u32 v14, v7, v10
	v_mul_lo_u32 v10, v7, v10
	v_mul_hi_u32 v15, v7, v8
	v_mul_lo_u32 v8, v7, v8
	v_add_co_u32 v11, vcc_lo, v11, v12
	v_add_co_ci_u32_e32 v12, vcc_lo, 0, v13, vcc_lo
	v_add_co_u32 v10, vcc_lo, v11, v10
	v_add_co_ci_u32_e32 v10, vcc_lo, v12, v14, vcc_lo
	v_add_co_ci_u32_e32 v11, vcc_lo, 0, v15, vcc_lo
	v_add_co_u32 v8, vcc_lo, v10, v8
	v_add_co_ci_u32_e32 v10, vcc_lo, 0, v11, vcc_lo
	v_add_co_u32 v4, vcc_lo, v4, v8
	v_add_co_ci_u32_e32 v12, vcc_lo, v7, v10, vcc_lo
	v_mul_hi_u32 v14, v5, v4
	v_mad_u64_u32 v[10:11], null, v6, v4, 0
	v_mad_u64_u32 v[7:8], null, v5, v12, 0
	v_mad_u64_u32 v[12:13], null, v6, v12, 0
	v_add_co_u32 v4, vcc_lo, v14, v7
	v_add_co_ci_u32_e32 v7, vcc_lo, 0, v8, vcc_lo
	v_add_co_u32 v4, vcc_lo, v4, v10
	v_add_co_ci_u32_e32 v4, vcc_lo, v7, v11, vcc_lo
	v_add_co_ci_u32_e32 v7, vcc_lo, 0, v13, vcc_lo
	v_add_co_u32 v4, vcc_lo, v4, v12
	v_add_co_ci_u32_e32 v10, vcc_lo, 0, v7, vcc_lo
	v_mul_lo_u32 v11, s19, v4
	v_mad_u64_u32 v[7:8], null, s18, v4, 0
	v_mul_lo_u32 v12, s18, v10
	v_sub_co_u32 v7, vcc_lo, v5, v7
	v_add3_u32 v8, v8, v12, v11
	v_sub_nc_u32_e32 v11, v6, v8
	v_subrev_co_ci_u32_e64 v11, s0, s19, v11, vcc_lo
	v_add_co_u32 v12, s0, v4, 2
	v_add_co_ci_u32_e64 v13, s0, 0, v10, s0
	v_sub_co_u32 v14, s0, v7, s18
	v_sub_co_ci_u32_e32 v8, vcc_lo, v6, v8, vcc_lo
	v_subrev_co_ci_u32_e64 v11, s0, 0, v11, s0
	v_cmp_le_u32_e32 vcc_lo, s18, v14
	v_cmp_eq_u32_e64 s0, s19, v8
	v_cndmask_b32_e64 v14, 0, -1, vcc_lo
	v_cmp_le_u32_e32 vcc_lo, s19, v11
	v_cndmask_b32_e64 v15, 0, -1, vcc_lo
	v_cmp_le_u32_e32 vcc_lo, s18, v7
	;; [unrolled: 2-line block ×3, first 2 shown]
	v_cndmask_b32_e64 v16, 0, -1, vcc_lo
	v_cmp_eq_u32_e32 vcc_lo, s19, v11
	v_cndmask_b32_e64 v7, v16, v7, s0
	v_cndmask_b32_e32 v11, v15, v14, vcc_lo
	v_add_co_u32 v14, vcc_lo, v4, 1
	v_add_co_ci_u32_e32 v15, vcc_lo, 0, v10, vcc_lo
	v_cmp_ne_u32_e32 vcc_lo, 0, v11
	v_cndmask_b32_e32 v8, v15, v13, vcc_lo
	v_cndmask_b32_e32 v11, v14, v12, vcc_lo
	v_cmp_ne_u32_e32 vcc_lo, 0, v7
	v_cndmask_b32_e32 v8, v10, v8, vcc_lo
	v_cndmask_b32_e32 v7, v4, v11, vcc_lo
.LBB0_4:                                ;   in Loop: Header=BB0_2 Depth=1
	s_andn2_saveexec_b32 s0, s1
	s_cbranch_execz .LBB0_6
; %bb.5:                                ;   in Loop: Header=BB0_2 Depth=1
	v_cvt_f32_u32_e32 v4, s18
	s_sub_i32 s1, 0, s18
	v_rcp_iflag_f32_e32 v4, v4
	v_mul_f32_e32 v4, 0x4f7ffffe, v4
	v_cvt_u32_f32_e32 v4, v4
	v_mul_lo_u32 v7, s1, v4
	v_mul_hi_u32 v7, v4, v7
	v_add_nc_u32_e32 v4, v4, v7
	v_mul_hi_u32 v4, v5, v4
	v_mul_lo_u32 v7, v4, s18
	v_add_nc_u32_e32 v8, 1, v4
	v_sub_nc_u32_e32 v7, v5, v7
	v_subrev_nc_u32_e32 v10, s18, v7
	v_cmp_le_u32_e32 vcc_lo, s18, v7
	v_cndmask_b32_e32 v7, v7, v10, vcc_lo
	v_cndmask_b32_e32 v4, v4, v8, vcc_lo
	v_cmp_le_u32_e32 vcc_lo, s18, v7
	v_add_nc_u32_e32 v8, 1, v4
	v_cndmask_b32_e32 v7, v4, v8, vcc_lo
	v_mov_b32_e32 v8, v3
.LBB0_6:                                ;   in Loop: Header=BB0_2 Depth=1
	s_or_b32 exec_lo, exec_lo, s0
	s_load_dwordx2 s[0:1], s[6:7], 0x0
	v_mul_lo_u32 v4, v8, s18
	v_mul_lo_u32 v12, v7, s19
	v_mad_u64_u32 v[10:11], null, v7, s18, 0
	s_add_u32 s16, s16, 1
	s_addc_u32 s17, s17, 0
	s_add_u32 s6, s6, 8
	s_addc_u32 s7, s7, 0
	;; [unrolled: 2-line block ×3, first 2 shown]
	v_add3_u32 v4, v11, v12, v4
	v_sub_co_u32 v5, vcc_lo, v5, v10
	v_sub_co_ci_u32_e32 v4, vcc_lo, v6, v4, vcc_lo
	s_waitcnt lgkmcnt(0)
	v_mul_lo_u32 v6, s1, v5
	v_mul_lo_u32 v4, s0, v4
	v_mad_u64_u32 v[1:2], null, s0, v5, v[1:2]
	v_cmp_ge_u64_e64 s0, s[16:17], s[10:11]
	s_and_b32 vcc_lo, exec_lo, s0
	v_add3_u32 v2, v6, v2, v4
	s_cbranch_vccnz .LBB0_9
; %bb.7:                                ;   in Loop: Header=BB0_2 Depth=1
	v_mov_b32_e32 v5, v7
	v_mov_b32_e32 v6, v8
	s_branch .LBB0_2
.LBB0_8:
	v_mov_b32_e32 v8, v6
	v_mov_b32_e32 v7, v5
.LBB0_9:
	s_lshl_b64 s[0:1], s[10:11], 3
	v_mul_hi_u32 v3, 0x2828283, v0
	s_add_u32 s0, s12, s0
	s_addc_u32 s1, s13, s1
	v_and_b32_e32 v6, 1, v9
	s_load_dwordx2 s[0:1], s[0:1], 0x0
	s_load_dwordx2 s[4:5], s[4:5], 0x20
	v_cmp_eq_u32_e32 vcc_lo, 1, v6
	v_mul_u32_u24_e32 v3, 0x66, v3
	v_sub_nc_u32_e32 v88, v0, v3
	v_lshlrev_b32_e32 v53, 4, v88
	s_waitcnt lgkmcnt(0)
	v_mul_lo_u32 v4, s0, v8
	v_mul_lo_u32 v5, s1, v7
	v_mad_u64_u32 v[1:2], null, s0, v7, v[1:2]
	v_add3_u32 v2, v5, v2, v4
	v_cndmask_b32_e64 v4, 0, 0x52f, vcc_lo
	v_cmp_gt_u64_e32 vcc_lo, s[4:5], v[7:8]
	v_lshlrev_b64 v[0:1], 4, v[1:2]
	v_lshlrev_b32_e32 v215, 4, v4
	buffer_store_dword v0, off, s[56:59], 0 ; 4-byte Folded Spill
	buffer_store_dword v1, off, s[56:59], 0 offset:4 ; 4-byte Folded Spill
	s_and_saveexec_b32 s1, vcc_lo
	s_cbranch_execz .LBB0_11
; %bb.10:
	s_clause 0x1
	buffer_load_dword v2, off, s[56:59], 0
	buffer_load_dword v3, off, s[56:59], 0 offset:4
	v_mov_b32_e32 v89, 0
	v_add3_u32 v52, 0, v215, v53
	v_lshlrev_b64 v[0:1], 4, v[88:89]
	s_waitcnt vmcnt(1)
	v_add_co_u32 v2, s0, s2, v2
	s_waitcnt vmcnt(0)
	v_add_co_ci_u32_e64 v3, s0, s3, v3, s0
	v_add_co_u32 v32, s0, v2, v0
	v_add_co_ci_u32_e64 v33, s0, v3, v1, s0
	s_clause 0x1
	global_load_dwordx4 v[0:3], v[32:33], off
	global_load_dwordx4 v[4:7], v[32:33], off offset:1632
	v_add_co_u32 v8, s0, 0x800, v32
	v_add_co_ci_u32_e64 v9, s0, 0, v33, s0
	v_add_co_u32 v12, s0, 0x1000, v32
	v_add_co_ci_u32_e64 v13, s0, 0, v33, s0
	;; [unrolled: 2-line block ×9, first 2 shown]
	s_clause 0xa
	global_load_dwordx4 v[8:11], v[8:9], off offset:1216
	global_load_dwordx4 v[12:15], v[12:13], off offset:800
	;; [unrolled: 1-line block ×11, first 2 shown]
	s_waitcnt vmcnt(12)
	ds_write_b128 v52, v[0:3]
	s_waitcnt vmcnt(11)
	ds_write_b128 v52, v[4:7] offset:1632
	s_waitcnt vmcnt(10)
	ds_write_b128 v52, v[8:11] offset:3264
	;; [unrolled: 2-line block ×12, first 2 shown]
.LBB0_11:
	s_or_b32 exec_lo, exec_lo, s1
	v_add3_u32 v214, 0, v53, v215
	s_waitcnt lgkmcnt(0)
	s_waitcnt_vscnt null, 0x0
	s_barrier
	buffer_gl0_inv
	v_add_nc_u32_e32 v0, 0, v215
	ds_read_b128 v[20:23], v214 offset:19968
	ds_read_b128 v[40:43], v214 offset:1248
	buffer_store_dword v53, off, s[56:59], 0 offset:8 ; 4-byte Folded Spill
	buffer_store_dword v0, off, s[56:59], 0 offset:12 ; 4-byte Folded Spill
	v_add_nc_u32_e32 v91, v0, v53
	ds_read_b128 v[28:31], v214 offset:18720
	ds_read_b128 v[24:27], v91
	ds_read_b128 v[44:47], v214 offset:2496
	s_mov_b32 s10, 0x5d8e7cdc
	s_mov_b32 s11, 0xbfd71e95
	;; [unrolled: 1-line block ×4, first 2 shown]
	ds_read_b128 v[48:51], v214 offset:3744
	ds_read_b128 v[32:35], v214 offset:17472
	s_mov_b32 s4, 0x370991
	s_mov_b32 s5, 0x3fedd6d0
	;; [unrolled: 1-line block ×5, first 2 shown]
	s_waitcnt lgkmcnt(5)
	v_add_f64 v[154:155], v[42:43], -v[22:23]
	v_add_f64 v[164:165], v[40:41], -v[20:21]
	v_add_f64 v[158:159], v[40:41], v[20:21]
	s_mov_b32 s13, 0xbfeca52d
	v_add_f64 v[162:163], v[42:43], v[22:23]
	s_mov_b32 s16, 0x2b2883cd
	s_mov_b32 s17, 0x3fdc86fa
	;; [unrolled: 1-line block ×4, first 2 shown]
	s_waitcnt lgkmcnt(2)
	v_add_f64 v[96:97], v[46:47], -v[30:31]
	v_add_f64 v[94:95], v[44:45], -v[28:29]
	v_add_f64 v[92:93], v[44:45], v[28:29]
	v_add_f64 v[104:105], v[46:47], v[30:31]
	s_mov_b32 s18, 0x3259b75e
	s_waitcnt lgkmcnt(0)
	v_add_f64 v[102:103], v[50:51], -v[34:35]
	v_add_f64 v[100:101], v[48:49], -v[32:33]
	v_add_f64 v[110:111], v[50:51], v[34:35]
	v_add_f64 v[98:99], v[48:49], v[32:33]
	s_mov_b32 s19, 0x3fb79ee6
	s_mov_b32 s24, 0x923c349f
	;; [unrolled: 1-line block ×4, first 2 shown]
	v_mul_f64 v[0:1], v[154:155], s[10:11]
	v_mul_f64 v[2:3], v[164:165], s[10:11]
	s_mov_b32 s23, 0xbfd183b1
	s_mov_b32 s28, 0x6c9a05f6
	;; [unrolled: 1-line block ×7, first 2 shown]
	v_mul_f64 v[4:5], v[96:97], s[6:7]
	v_mul_f64 v[6:7], v[94:95], s[6:7]
	s_mov_b32 s41, 0xbfe0d888
	s_mov_b32 s40, s34
	;; [unrolled: 1-line block ×3, first 2 shown]
	v_mul_f64 v[8:9], v[102:103], s[12:13]
	s_mov_b32 s31, 0xbfeb34fa
	s_mov_b32 s38, 0xacd6c6b4
	;; [unrolled: 1-line block ×5, first 2 shown]
	v_mul_f64 v[198:199], v[154:155], s[6:7]
	v_mul_f64 v[200:201], v[164:165], s[6:7]
	buffer_store_dword v0, off, s[56:59], 0 offset:48 ; 4-byte Folded Spill
	buffer_store_dword v1, off, s[56:59], 0 offset:52 ; 4-byte Folded Spill
	;; [unrolled: 1-line block ×4, first 2 shown]
	s_mov_b32 s43, 0x3feec746
	s_mov_b32 s42, s24
	buffer_store_dword v4, off, s[56:59], 0 offset:16 ; 4-byte Folded Spill
	buffer_store_dword v5, off, s[56:59], 0 offset:20 ; 4-byte Folded Spill
	;; [unrolled: 1-line block ×6, first 2 shown]
	s_mov_b32 s51, 0x3feca52d
	s_mov_b32 s50, s12
	;; [unrolled: 1-line block ×4, first 2 shown]
	v_mul_f64 v[10:11], v[96:97], s[28:29]
	v_mul_f64 v[202:203], v[154:155], s[12:13]
	;; [unrolled: 1-line block ×4, first 2 shown]
	s_mov_b32 s47, 0x3fc7851a
	s_mov_b32 s46, s38
	v_mul_f64 v[14:15], v[96:97], s[38:39]
	v_mul_f64 v[238:239], v[100:101], s[46:47]
	s_mov_b32 s49, 0x3fe58eea
	s_mov_b32 s48, s6
	v_mul_f64 v[206:207], v[154:155], s[20:21]
	v_mul_f64 v[208:209], v[164:165], s[20:21]
	;; [unrolled: 1-line block ×5, first 2 shown]
	s_mov_b32 s53, 0x3fe9895b
	s_mov_b32 s52, s28
	v_mul_f64 v[210:211], v[154:155], s[24:25]
	v_mul_f64 v[226:227], v[96:97], s[34:35]
	;; [unrolled: 1-line block ×6, first 2 shown]
	s_mov_b32 s55, 0x3fefdd0d
	s_mov_b32 s54, s20
	v_fma_f64 v[12:13], v[104:105], s[26:27], -v[224:225]
	s_mov_b32 s1, exec_lo
	v_fma_f64 v[16:17], v[104:105], s[36:37], -v[244:245]
	v_fma_f64 v[160:161], v[104:105], s[30:31], -v[182:183]
	v_fma_f64 v[0:1], v[158:159], s[4:5], v[0:1]
	v_fma_f64 v[2:3], v[162:163], s[4:5], -v[2:3]
	v_fma_f64 v[4:5], v[92:93], s[14:15], v[4:5]
	;; [unrolled: 2-line block ×3, first 2 shown]
	v_add_f64 v[0:1], v[24:25], v[0:1]
	v_add_f64 v[2:3], v[26:27], v[2:3]
	;; [unrolled: 1-line block ×3, first 2 shown]
	v_mul_f64 v[4:5], v[100:101], s[12:13]
	v_add_f64 v[2:3], v[6:7], v[2:3]
	v_mul_f64 v[6:7], v[96:97], s[20:21]
	buffer_store_dword v4, off, s[56:59], 0 offset:40 ; 4-byte Folded Spill
	buffer_store_dword v5, off, s[56:59], 0 offset:44 ; 4-byte Folded Spill
	ds_read_b128 v[36:39], v214 offset:16224
	ds_read_b128 v[56:59], v214 offset:4992
	;; [unrolled: 1-line block ×4, first 2 shown]
	v_add_f64 v[0:1], v[8:9], v[0:1]
	v_mul_f64 v[8:9], v[94:95], s[20:21]
	s_waitcnt lgkmcnt(2)
	v_add_f64 v[116:117], v[58:59], -v[38:39]
	v_add_f64 v[106:107], v[56:57], v[36:37]
	v_add_f64 v[108:109], v[56:57], -v[36:37]
	v_add_f64 v[118:119], v[58:59], v[38:39]
	s_waitcnt lgkmcnt(0)
	v_add_f64 v[120:121], v[66:67], -v[54:55]
	v_add_f64 v[112:113], v[64:65], v[52:53]
	v_add_f64 v[114:115], v[64:65], -v[52:53]
	v_add_f64 v[124:125], v[66:67], v[54:55]
	v_mul_f64 v[222:223], v[116:117], s[42:43]
	v_mul_f64 v[242:243], v[116:117], s[44:45]
	;; [unrolled: 1-line block ×11, first 2 shown]
	v_fma_f64 v[4:5], v[110:111], s[16:17], -v[4:5]
	v_add_f64 v[2:3], v[4:5], v[2:3]
	v_mul_f64 v[4:5], v[116:117], s[20:21]
	buffer_store_dword v4, off, s[56:59], 0 offset:56 ; 4-byte Folded Spill
	buffer_store_dword v5, off, s[56:59], 0 offset:60 ; 4-byte Folded Spill
	v_fma_f64 v[4:5], v[106:107], s[18:19], v[4:5]
	v_add_f64 v[0:1], v[4:5], v[0:1]
	v_mul_f64 v[4:5], v[108:109], s[20:21]
	buffer_store_dword v4, off, s[56:59], 0 offset:64 ; 4-byte Folded Spill
	buffer_store_dword v5, off, s[56:59], 0 offset:68 ; 4-byte Folded Spill
	v_fma_f64 v[4:5], v[118:119], s[18:19], -v[4:5]
	v_add_f64 v[2:3], v[4:5], v[2:3]
	v_mul_f64 v[4:5], v[120:121], s[24:25]
	buffer_store_dword v4, off, s[56:59], 0 offset:80 ; 4-byte Folded Spill
	buffer_store_dword v5, off, s[56:59], 0 offset:84 ; 4-byte Folded Spill
	v_fma_f64 v[4:5], v[112:113], s[22:23], v[4:5]
	v_add_f64 v[0:1], v[4:5], v[0:1]
	v_mul_f64 v[4:5], v[114:115], s[24:25]
	buffer_store_dword v4, off, s[56:59], 0 offset:88 ; 4-byte Folded Spill
	buffer_store_dword v5, off, s[56:59], 0 offset:92 ; 4-byte Folded Spill
	ds_read_b128 v[60:63], v214 offset:13728
	ds_read_b128 v[68:71], v214 offset:7488
	;; [unrolled: 1-line block ×4, first 2 shown]
	s_waitcnt lgkmcnt(2)
	v_add_f64 v[132:133], v[70:71], -v[62:63]
	v_add_f64 v[122:123], v[68:69], v[60:61]
	v_add_f64 v[126:127], v[68:69], -v[60:61]
	v_add_f64 v[134:135], v[70:71], v[62:63]
	s_waitcnt lgkmcnt(0)
	v_add_f64 v[140:141], v[78:79], -v[74:75]
	v_add_f64 v[128:129], v[76:77], v[72:73]
	v_add_f64 v[130:131], v[76:77], -v[72:73]
	v_add_f64 v[142:143], v[78:79], v[74:75]
	v_mul_f64 v[236:237], v[132:133], s[10:11]
	v_mul_f64 v[150:151], v[132:133], s[40:41]
	;; [unrolled: 1-line block ×11, first 2 shown]
	v_fma_f64 v[4:5], v[124:125], s[22:23], -v[4:5]
	v_add_f64 v[2:3], v[4:5], v[2:3]
	v_mul_f64 v[4:5], v[132:133], s[28:29]
	buffer_store_dword v4, off, s[56:59], 0 offset:96 ; 4-byte Folded Spill
	buffer_store_dword v5, off, s[56:59], 0 offset:100 ; 4-byte Folded Spill
	v_fma_f64 v[4:5], v[122:123], s[26:27], v[4:5]
	v_add_f64 v[0:1], v[4:5], v[0:1]
	v_mul_f64 v[4:5], v[126:127], s[28:29]
	buffer_store_dword v4, off, s[56:59], 0 offset:104 ; 4-byte Folded Spill
	buffer_store_dword v5, off, s[56:59], 0 offset:108 ; 4-byte Folded Spill
	v_fma_f64 v[4:5], v[134:135], s[26:27], -v[4:5]
	v_add_f64 v[2:3], v[4:5], v[2:3]
	v_mul_f64 v[4:5], v[140:141], s[40:41]
	buffer_store_dword v4, off, s[56:59], 0 offset:112 ; 4-byte Folded Spill
	buffer_store_dword v5, off, s[56:59], 0 offset:116 ; 4-byte Folded Spill
	v_fma_f64 v[4:5], v[128:129], s[30:31], v[4:5]
	v_add_f64 v[0:1], v[4:5], v[0:1]
	v_mul_f64 v[4:5], v[130:131], s[40:41]
	buffer_store_dword v4, off, s[56:59], 0 offset:120 ; 4-byte Folded Spill
	buffer_store_dword v5, off, s[56:59], 0 offset:124 ; 4-byte Folded Spill
	ds_read_b128 v[84:87], v214 offset:9984
	ds_read_b128 v[80:83], v214 offset:11232
	s_waitcnt lgkmcnt(0)
	v_add_f64 v[144:145], v[86:87], -v[82:83]
	v_add_f64 v[136:137], v[84:85], v[80:81]
	v_add_f64 v[138:139], v[84:85], -v[80:81]
	v_add_f64 v[148:149], v[86:87], v[82:83]
	v_mul_f64 v[228:229], v[144:145], s[40:41]
	v_mul_f64 v[254:255], v[144:145], s[48:49]
	;; [unrolled: 1-line block ×5, first 2 shown]
	v_fma_f64 v[4:5], v[142:143], s[30:31], -v[4:5]
	v_add_f64 v[2:3], v[4:5], v[2:3]
	v_mul_f64 v[4:5], v[144:145], s[38:39]
	buffer_store_dword v4, off, s[56:59], 0 offset:128 ; 4-byte Folded Spill
	buffer_store_dword v5, off, s[56:59], 0 offset:132 ; 4-byte Folded Spill
	v_fma_f64 v[4:5], v[136:137], s[36:37], v[4:5]
	v_add_f64 v[0:1], v[4:5], v[0:1]
	v_mul_f64 v[4:5], v[138:139], s[38:39]
	buffer_store_dword v4, off, s[56:59], 0 offset:152 ; 4-byte Folded Spill
	buffer_store_dword v5, off, s[56:59], 0 offset:156 ; 4-byte Folded Spill
	;; [unrolled: 1-line block ×6, first 2 shown]
	v_fma_f64 v[4:5], v[148:149], s[36:37], -v[4:5]
	v_fma_f64 v[6:7], v[92:93], s[18:19], v[6:7]
	v_fma_f64 v[8:9], v[104:105], s[18:19], -v[8:9]
	v_add_f64 v[2:3], v[4:5], v[2:3]
	v_fma_f64 v[4:5], v[158:159], s[14:15], v[198:199]
	v_add_f64 v[4:5], v[24:25], v[4:5]
	v_add_f64 v[4:5], v[6:7], v[4:5]
	v_fma_f64 v[6:7], v[162:163], s[14:15], -v[200:201]
	v_add_f64 v[6:7], v[26:27], v[6:7]
	v_add_f64 v[6:7], v[8:9], v[6:7]
	v_mul_f64 v[8:9], v[102:103], s[28:29]
	buffer_store_dword v8, off, s[56:59], 0 offset:144 ; 4-byte Folded Spill
	buffer_store_dword v9, off, s[56:59], 0 offset:148 ; 4-byte Folded Spill
	v_fma_f64 v[8:9], v[98:99], s[26:27], v[8:9]
	v_add_f64 v[4:5], v[8:9], v[4:5]
	v_mul_f64 v[8:9], v[100:101], s[28:29]
	buffer_store_dword v8, off, s[56:59], 0 offset:192 ; 4-byte Folded Spill
	buffer_store_dword v9, off, s[56:59], 0 offset:196 ; 4-byte Folded Spill
	v_fma_f64 v[8:9], v[110:111], s[26:27], -v[8:9]
	v_add_f64 v[6:7], v[8:9], v[6:7]
	v_mul_f64 v[8:9], v[116:117], s[38:39]
	buffer_store_dword v8, off, s[56:59], 0 offset:160 ; 4-byte Folded Spill
	buffer_store_dword v9, off, s[56:59], 0 offset:164 ; 4-byte Folded Spill
	v_fma_f64 v[8:9], v[106:107], s[36:37], v[8:9]
	v_add_f64 v[4:5], v[8:9], v[4:5]
	v_mul_f64 v[8:9], v[108:109], s[38:39]
	buffer_store_dword v8, off, s[56:59], 0 offset:224 ; 4-byte Folded Spill
	buffer_store_dword v9, off, s[56:59], 0 offset:228 ; 4-byte Folded Spill
	v_fma_f64 v[8:9], v[118:119], s[36:37], -v[8:9]
	;; [unrolled: 10-line block ×4, first 2 shown]
	v_add_f64 v[6:7], v[8:9], v[6:7]
	v_mul_f64 v[8:9], v[140:141], s[50:51]
	buffer_store_dword v8, off, s[56:59], 0 offset:208 ; 4-byte Folded Spill
	buffer_store_dword v9, off, s[56:59], 0 offset:212 ; 4-byte Folded Spill
	v_fma_f64 v[8:9], v[128:129], s[16:17], v[8:9]
	v_add_f64 v[4:5], v[8:9], v[4:5]
	v_fma_f64 v[8:9], v[142:143], s[16:17], -v[218:219]
	v_add_f64 v[6:7], v[8:9], v[6:7]
	v_mul_f64 v[8:9], v[144:145], s[44:45]
	buffer_store_dword v8, off, s[56:59], 0 offset:216 ; 4-byte Folded Spill
	buffer_store_dword v9, off, s[56:59], 0 offset:220 ; 4-byte Folded Spill
	buffer_store_dword v10, off, s[56:59], 0 offset:176 ; 4-byte Folded Spill
	buffer_store_dword v11, off, s[56:59], 0 offset:180 ; 4-byte Folded Spill
	v_fma_f64 v[8:9], v[136:137], s[4:5], v[8:9]
	v_fma_f64 v[10:11], v[92:93], s[26:27], v[10:11]
	v_add_f64 v[4:5], v[8:9], v[4:5]
	v_fma_f64 v[8:9], v[148:149], s[4:5], -v[220:221]
	v_add_f64 v[6:7], v[8:9], v[6:7]
	v_fma_f64 v[8:9], v[158:159], s[16:17], v[202:203]
	v_add_f64 v[8:9], v[24:25], v[8:9]
	v_add_f64 v[8:9], v[10:11], v[8:9]
	v_fma_f64 v[10:11], v[162:163], s[16:17], -v[204:205]
	v_add_f64 v[10:11], v[26:27], v[10:11]
	v_add_f64 v[10:11], v[12:13], v[10:11]
	v_mul_f64 v[12:13], v[102:103], s[46:47]
	buffer_store_dword v12, off, s[56:59], 0 offset:240 ; 4-byte Folded Spill
	buffer_store_dword v13, off, s[56:59], 0 offset:244 ; 4-byte Folded Spill
	;; [unrolled: 1-line block ×4, first 2 shown]
	s_waitcnt_vscnt null, 0x0
	s_barrier
	buffer_gl0_inv
	v_fma_f64 v[12:13], v[98:99], s[36:37], v[12:13]
	v_fma_f64 v[14:15], v[92:93], s[36:37], v[14:15]
	v_add_f64 v[8:9], v[12:13], v[8:9]
	v_fma_f64 v[12:13], v[110:111], s[36:37], -v[238:239]
	v_add_f64 v[10:11], v[12:13], v[10:11]
	v_fma_f64 v[12:13], v[106:107], s[22:23], v[222:223]
	v_add_f64 v[8:9], v[12:13], v[8:9]
	v_fma_f64 v[12:13], v[118:119], s[22:23], -v[248:249]
	v_add_f64 v[10:11], v[12:13], v[10:11]
	;; [unrolled: 4-line block ×6, first 2 shown]
	v_fma_f64 v[12:13], v[158:159], s[18:19], v[206:207]
	v_add_f64 v[12:13], v[24:25], v[12:13]
	v_add_f64 v[12:13], v[14:15], v[12:13]
	v_fma_f64 v[14:15], v[162:163], s[18:19], -v[208:209]
	v_add_f64 v[14:15], v[26:27], v[14:15]
	v_add_f64 v[14:15], v[16:17], v[14:15]
	v_fma_f64 v[16:17], v[98:99], s[22:23], v[232:233]
	v_add_f64 v[12:13], v[16:17], v[12:13]
	v_fma_f64 v[16:17], v[110:111], s[22:23], -v[156:157]
	v_add_f64 v[14:15], v[16:17], v[14:15]
	v_fma_f64 v[16:17], v[106:107], s[4:5], v[242:243]
	v_add_f64 v[12:13], v[16:17], v[12:13]
	v_fma_f64 v[16:17], v[118:119], s[4:5], -v[168:169]
	;; [unrolled: 4-line block ×6, first 2 shown]
	v_add_f64 v[18:19], v[12:13], v[14:15]
	v_fma_f64 v[12:13], v[158:159], s[22:23], v[210:211]
	v_fma_f64 v[14:15], v[92:93], s[30:31], v[226:227]
	v_add_f64 v[12:13], v[24:25], v[12:13]
	v_add_f64 v[12:13], v[14:15], v[12:13]
	v_fma_f64 v[14:15], v[162:163], s[22:23], -v[212:213]
	v_add_f64 v[14:15], v[26:27], v[14:15]
	v_add_f64 v[14:15], v[160:161], v[14:15]
	v_fma_f64 v[160:161], v[98:99], s[14:15], v[240:241]
	v_add_f64 v[12:13], v[160:161], v[12:13]
	v_fma_f64 v[160:161], v[110:111], s[14:15], -v[184:185]
	v_add_f64 v[14:15], v[160:161], v[14:15]
	v_fma_f64 v[160:161], v[106:107], s[16:17], v[250:251]
	v_add_f64 v[12:13], v[160:161], v[12:13]
	v_fma_f64 v[160:161], v[118:119], s[16:17], -v[190:191]
	v_add_f64 v[14:15], v[160:161], v[14:15]
	v_mul_f64 v[160:161], v[120:121], s[38:39]
	v_fma_f64 v[170:171], v[112:113], s[36:37], v[160:161]
	v_add_f64 v[12:13], v[170:171], v[12:13]
	v_fma_f64 v[170:171], v[124:125], s[36:37], -v[194:195]
	v_add_f64 v[14:15], v[170:171], v[14:15]
	v_mul_f64 v[170:171], v[132:133], s[54:55]
	;; [unrolled: 5-line block ×4, first 2 shown]
	v_fma_f64 v[188:189], v[136:137], s[26:27], v[176:177]
	v_add_f64 v[12:13], v[188:189], v[12:13]
	v_mul_f64 v[188:189], v[138:139], s[28:29]
	v_fma_f64 v[216:217], v[148:149], s[26:27], -v[188:189]
	v_add_f64 v[14:15], v[216:217], v[14:15]
	v_cmpx_gt_u32_e32 0x4e, v88
	s_cbranch_execz .LBB0_13
; %bb.12:
	v_add_f64 v[40:41], v[24:25], v[40:41]
	v_add_f64 v[42:43], v[26:27], v[42:43]
	;; [unrolled: 1-line block ×4, first 2 shown]
	v_mul_f64 v[46:47], v[158:159], s[18:19]
	v_mul_f64 v[44:45], v[162:163], s[18:19]
	v_add_f64 v[40:41], v[40:41], v[48:49]
	v_add_f64 v[42:43], v[42:43], v[50:51]
	v_mul_f64 v[48:49], v[162:163], s[16:17]
	v_mul_f64 v[50:51], v[158:159], s[16:17]
	v_add_f64 v[46:47], v[46:47], -v[206:207]
	v_add_f64 v[44:45], v[208:209], v[44:45]
	v_add_f64 v[40:41], v[40:41], v[56:57]
	v_add_f64 v[42:43], v[42:43], v[58:59]
	s_clause 0x1
	buffer_load_dword v58, off, s[56:59], 0 offset:72
	buffer_load_dword v59, off, s[56:59], 0 offset:76
	v_mul_f64 v[56:57], v[162:163], s[4:5]
	v_add_f64 v[48:49], v[204:205], v[48:49]
	v_add_f64 v[50:51], v[50:51], -v[202:203]
	v_add_f64 v[46:47], v[24:25], v[46:47]
	v_add_f64 v[44:45], v[26:27], v[44:45]
	;; [unrolled: 1-line block ×6, first 2 shown]
	v_mul_f64 v[70:71], v[158:159], s[4:5]
	v_add_f64 v[40:41], v[40:41], v[76:77]
	v_add_f64 v[42:43], v[42:43], v[78:79]
	;; [unrolled: 1-line block ×7, first 2 shown]
	s_clause 0x1
	buffer_load_dword v72, off, s[56:59], 0 offset:48
	buffer_load_dword v73, off, s[56:59], 0 offset:52
	v_add_f64 v[42:43], v[42:43], v[74:75]
	v_add_f64 v[40:41], v[40:41], v[60:61]
	v_mul_f64 v[60:61], v[154:155], s[40:41]
	v_add_f64 v[42:43], v[42:43], v[62:63]
	v_mul_f64 v[62:63], v[154:155], s[28:29]
	;; [unrolled: 2-line block ×4, first 2 shown]
	v_fma_f64 v[66:67], v[158:159], s[30:31], v[60:61]
	v_fma_f64 v[60:61], v[158:159], s[30:31], -v[60:61]
	v_fma_f64 v[68:69], v[158:159], s[26:27], v[62:63]
	v_fma_f64 v[62:63], v[158:159], s[26:27], -v[62:63]
	v_add_f64 v[36:37], v[40:41], v[36:37]
	v_mul_f64 v[40:41], v[162:163], s[22:23]
	v_add_f64 v[38:39], v[42:43], v[38:39]
	v_mul_f64 v[42:43], v[158:159], s[22:23]
	v_add_f64 v[54:55], v[54:55], -v[198:199]
	v_add_f64 v[52:53], v[200:201], v[52:53]
	v_add_f64 v[66:67], v[24:25], v[66:67]
	;; [unrolled: 1-line block ×5, first 2 shown]
	v_mul_f64 v[198:199], v[144:145], s[54:55]
	v_add_f64 v[32:33], v[36:37], v[32:33]
	v_mul_f64 v[36:37], v[162:163], s[26:27]
	v_add_f64 v[34:35], v[38:39], v[34:35]
	v_add_f64 v[40:41], v[212:213], v[40:41]
	v_add_f64 v[42:43], v[42:43], -v[210:211]
	v_add_f64 v[28:29], v[32:33], v[28:29]
	v_mul_f64 v[32:33], v[162:163], s[30:31]
	v_add_f64 v[30:31], v[34:35], v[30:31]
	v_fma_f64 v[38:39], v[164:165], s[52:53], v[36:37]
	v_add_f64 v[80:81], v[26:27], v[40:41]
	v_add_f64 v[40:41], v[26:27], v[48:49]
	v_mul_f64 v[48:49], v[104:105], s[4:5]
	v_fma_f64 v[36:37], v[164:165], s[28:29], v[36:37]
	v_add_f64 v[82:83], v[24:25], v[42:43]
	v_add_f64 v[42:43], v[24:25], v[50:51]
	v_mul_f64 v[50:51], v[110:111], s[30:31]
	v_add_f64 v[20:21], v[28:29], v[20:21]
	v_mul_f64 v[28:29], v[162:163], s[36:37]
	v_add_f64 v[22:23], v[30:31], v[22:23]
	v_fma_f64 v[34:35], v[164:165], s[34:35], v[32:33]
	v_add_f64 v[76:77], v[26:27], v[38:39]
	v_add_f64 v[38:39], v[24:25], v[54:55]
	v_fma_f64 v[32:33], v[164:165], s[40:41], v[32:33]
	v_add_f64 v[78:79], v[26:27], v[36:37]
	v_add_f64 v[36:37], v[26:27], v[52:53]
	v_fma_f64 v[52:53], v[100:101], s[34:35], v[50:51]
	v_fma_f64 v[30:31], v[164:165], s[46:47], v[28:29]
	;; [unrolled: 1-line block ×3, first 2 shown]
	v_mul_f64 v[164:165], v[148:149], s[18:19]
	v_add_f64 v[74:75], v[26:27], v[32:33]
	v_add_f64 v[30:31], v[26:27], v[30:31]
	;; [unrolled: 1-line block ×3, first 2 shown]
	s_waitcnt vmcnt(2)
	v_add_f64 v[56:57], v[58:59], v[56:57]
	v_mul_f64 v[58:59], v[154:155], s[38:39]
	v_add_f64 v[32:33], v[26:27], v[56:57]
	v_fma_f64 v[64:65], v[158:159], s[36:37], v[58:59]
	v_fma_f64 v[58:59], v[158:159], s[36:37], -v[58:59]
	v_add_f64 v[64:65], v[24:25], v[64:65]
	v_add_f64 v[58:59], v[24:25], v[58:59]
	s_waitcnt vmcnt(0)
	v_add_f64 v[70:71], v[70:71], -v[72:73]
	v_add_f64 v[72:73], v[26:27], v[34:35]
	v_add_f64 v[34:35], v[24:25], v[70:71]
	v_fma_f64 v[24:25], v[94:95], s[10:11], v[48:49]
	v_fma_f64 v[48:49], v[94:95], s[44:45], v[48:49]
	v_add_f64 v[24:25], v[24:25], v[30:31]
	v_mul_f64 v[30:31], v[96:97], s[44:45]
	v_add_f64 v[28:29], v[48:49], v[28:29]
	v_fma_f64 v[48:49], v[100:101], s[40:41], v[50:51]
	v_fma_f64 v[50:51], v[136:137], s[18:19], -v[198:199]
	v_add_f64 v[24:25], v[52:53], v[24:25]
	v_fma_f64 v[26:27], v[92:93], s[4:5], v[30:31]
	v_mul_f64 v[52:53], v[102:103], s[40:41]
	v_fma_f64 v[30:31], v[92:93], s[4:5], -v[30:31]
	v_add_f64 v[28:29], v[48:49], v[28:29]
	v_add_f64 v[26:27], v[26:27], v[64:65]
	v_fma_f64 v[54:55], v[98:99], s[30:31], v[52:53]
	v_add_f64 v[30:31], v[30:31], v[58:59]
	v_fma_f64 v[48:49], v[98:99], s[30:31], -v[52:53]
	v_add_f64 v[26:27], v[54:55], v[26:27]
	v_mul_f64 v[54:55], v[118:119], s[14:15]
	v_add_f64 v[30:31], v[48:49], v[30:31]
	v_fma_f64 v[56:57], v[108:109], s[6:7], v[54:55]
	v_fma_f64 v[48:49], v[108:109], s[48:49], v[54:55]
	v_add_f64 v[24:25], v[56:57], v[24:25]
	v_mul_f64 v[56:57], v[116:117], s[48:49]
	v_add_f64 v[28:29], v[48:49], v[28:29]
	v_fma_f64 v[64:65], v[106:107], s[14:15], v[56:57]
	v_fma_f64 v[48:49], v[106:107], s[14:15], -v[56:57]
	v_add_f64 v[26:27], v[64:65], v[26:27]
	v_mul_f64 v[64:65], v[124:125], s[26:27]
	v_add_f64 v[30:31], v[48:49], v[30:31]
	v_fma_f64 v[70:71], v[114:115], s[52:53], v[64:65]
	v_fma_f64 v[48:49], v[114:115], s[28:29], v[64:65]
	v_add_f64 v[24:25], v[70:71], v[24:25]
	v_mul_f64 v[70:71], v[120:121], s[28:29]
	v_add_f64 v[28:29], v[48:49], v[28:29]
	v_fma_f64 v[84:85], v[112:113], s[26:27], v[70:71]
	;; [unrolled: 10-line block ×3, first 2 shown]
	v_fma_f64 v[48:49], v[122:123], s[16:17], -v[86:87]
	v_add_f64 v[26:27], v[154:155], v[26:27]
	v_mul_f64 v[154:155], v[142:143], s[22:23]
	v_add_f64 v[30:31], v[48:49], v[30:31]
	v_fma_f64 v[158:159], v[130:131], s[42:43], v[154:155]
	v_fma_f64 v[48:49], v[130:131], s[24:25], v[154:155]
	v_mul_f64 v[154:155], v[140:141], s[38:39]
	v_add_f64 v[24:25], v[158:159], v[24:25]
	v_mul_f64 v[158:159], v[140:141], s[24:25]
	v_add_f64 v[28:29], v[48:49], v[28:29]
	v_fma_f64 v[48:49], v[128:129], s[22:23], -v[158:159]
	v_fma_f64 v[162:163], v[128:129], s[22:23], v[158:159]
	v_mul_f64 v[158:159], v[144:145], s[50:51]
	v_add_f64 v[48:49], v[48:49], v[30:31]
	v_fma_f64 v[30:31], v[138:139], s[54:55], v[164:165]
	v_add_f64 v[162:163], v[162:163], v[26:27]
	v_fma_f64 v[26:27], v[138:139], s[20:21], v[164:165]
	v_add_f64 v[30:31], v[30:31], v[28:29]
	v_add_f64 v[28:29], v[50:51], v[48:49]
	s_clause 0x9
	buffer_load_dword v50, off, s[56:59], 0 offset:32
	buffer_load_dword v51, off, s[56:59], 0 offset:36
	;; [unrolled: 1-line block ×10, first 2 shown]
	v_mul_f64 v[48:49], v[104:105], s[14:15]
	s_clause 0x7
	buffer_load_dword v64, off, s[56:59], 0 offset:56
	buffer_load_dword v65, off, s[56:59], 0 offset:60
	;; [unrolled: 1-line block ×8, first 2 shown]
	v_add_f64 v[26:27], v[26:27], v[24:25]
	v_fma_f64 v[24:25], v[136:137], s[18:19], v[198:199]
	v_add_f64 v[24:25], v[24:25], v[162:163]
	s_waitcnt vmcnt(16)
	v_add_f64 v[48:49], v[50:51], v[48:49]
	v_mul_f64 v[50:51], v[92:93], s[14:15]
	v_add_f64 v[32:33], v[48:49], v[32:33]
	s_waitcnt vmcnt(14)
	v_add_f64 v[50:51], v[50:51], -v[52:53]
	v_mul_f64 v[52:53], v[110:111], s[16:17]
	v_mul_f64 v[48:49], v[122:123], s[26:27]
	v_add_f64 v[34:35], v[50:51], v[34:35]
	s_waitcnt vmcnt(12)
	v_add_f64 v[52:53], v[54:55], v[52:53]
	v_mul_f64 v[54:55], v[98:99], s[16:17]
	s_clause 0x1
	buffer_load_dword v50, off, s[56:59], 0 offset:96
	buffer_load_dword v51, off, s[56:59], 0 offset:100
	v_add_f64 v[32:33], v[52:53], v[32:33]
	s_waitcnt vmcnt(12)
	v_add_f64 v[54:55], v[54:55], -v[56:57]
	v_mul_f64 v[56:57], v[118:119], s[18:19]
	s_clause 0x1
	buffer_load_dword v52, off, s[56:59], 0 offset:120
	buffer_load_dword v53, off, s[56:59], 0 offset:124
	v_add_f64 v[34:35], v[54:55], v[34:35]
	s_waitcnt vmcnt(12)
	v_add_f64 v[56:57], v[58:59], v[56:57]
	s_clause 0x1
	buffer_load_dword v54, off, s[56:59], 0 offset:112
	buffer_load_dword v55, off, s[56:59], 0 offset:116
	v_mul_f64 v[58:59], v[106:107], s[18:19]
	v_add_f64 v[32:33], v[56:57], v[32:33]
	s_clause 0x1
	buffer_load_dword v56, off, s[56:59], 0 offset:152
	buffer_load_dword v57, off, s[56:59], 0 offset:156
	s_waitcnt vmcnt(14)
	v_add_f64 v[58:59], v[58:59], -v[64:65]
	v_mul_f64 v[64:65], v[124:125], s[22:23]
	v_add_f64 v[34:35], v[58:59], v[34:35]
	s_waitcnt vmcnt(12)
	v_add_f64 v[64:65], v[70:71], v[64:65]
	v_mul_f64 v[70:71], v[112:113], s[22:23]
	v_add_f64 v[32:33], v[64:65], v[32:33]
	s_waitcnt vmcnt(10)
	v_add_f64 v[70:71], v[70:71], -v[84:85]
	v_mul_f64 v[84:85], v[134:135], s[26:27]
	v_add_f64 v[34:35], v[70:71], v[34:35]
	s_waitcnt vmcnt(8)
	v_add_f64 v[84:85], v[86:87], v[84:85]
	v_add_f64 v[32:33], v[84:85], v[32:33]
	s_waitcnt vmcnt(6)
	v_add_f64 v[48:49], v[48:49], -v[50:51]
	v_mul_f64 v[50:51], v[142:143], s[30:31]
	v_add_f64 v[34:35], v[48:49], v[34:35]
	s_waitcnt vmcnt(4)
	v_add_f64 v[50:51], v[52:53], v[50:51]
	v_mul_f64 v[52:53], v[128:129], s[30:31]
	v_mul_f64 v[48:49], v[136:137], s[36:37]
	v_add_f64 v[32:33], v[50:51], v[32:33]
	s_waitcnt vmcnt(2)
	v_add_f64 v[52:53], v[52:53], -v[54:55]
	v_mul_f64 v[54:55], v[148:149], s[36:37]
	v_add_f64 v[50:51], v[52:53], v[34:35]
	s_waitcnt vmcnt(0)
	v_add_f64 v[54:55], v[56:57], v[54:55]
	s_clause 0x1
	buffer_load_dword v56, off, s[56:59], 0 offset:128
	buffer_load_dword v57, off, s[56:59], 0 offset:132
	v_add_f64 v[34:35], v[54:55], v[32:33]
	s_waitcnt vmcnt(0)
	v_add_f64 v[48:49], v[48:49], -v[56:57]
	v_add_f64 v[32:33], v[48:49], v[50:51]
	s_clause 0x9
	buffer_load_dword v50, off, s[56:59], 0 offset:168
	buffer_load_dword v51, off, s[56:59], 0 offset:172
	;; [unrolled: 1-line block ×10, first 2 shown]
	v_mul_f64 v[48:49], v[104:105], s[18:19]
	s_clause 0x7
	buffer_load_dword v64, off, s[56:59], 0 offset:160
	buffer_load_dword v65, off, s[56:59], 0 offset:164
	;; [unrolled: 1-line block ×8, first 2 shown]
	s_waitcnt vmcnt(16)
	v_add_f64 v[48:49], v[50:51], v[48:49]
	v_mul_f64 v[50:51], v[92:93], s[18:19]
	v_add_f64 v[36:37], v[48:49], v[36:37]
	s_waitcnt vmcnt(14)
	v_add_f64 v[50:51], v[50:51], -v[52:53]
	v_mul_f64 v[52:53], v[110:111], s[26:27]
	v_mul_f64 v[48:49], v[122:123], s[22:23]
	v_add_f64 v[38:39], v[50:51], v[38:39]
	s_waitcnt vmcnt(12)
	v_add_f64 v[52:53], v[54:55], v[52:53]
	v_mul_f64 v[54:55], v[98:99], s[26:27]
	s_clause 0x1
	buffer_load_dword v50, off, s[56:59], 0 offset:200
	buffer_load_dword v51, off, s[56:59], 0 offset:204
	v_add_f64 v[36:37], v[52:53], v[36:37]
	s_waitcnt vmcnt(12)
	v_add_f64 v[54:55], v[54:55], -v[56:57]
	v_mul_f64 v[56:57], v[118:119], s[36:37]
	v_mul_f64 v[52:53], v[128:129], s[16:17]
	v_add_f64 v[38:39], v[54:55], v[38:39]
	s_waitcnt vmcnt(10)
	v_add_f64 v[56:57], v[58:59], v[56:57]
	s_clause 0x1
	buffer_load_dword v54, off, s[56:59], 0 offset:208
	buffer_load_dword v55, off, s[56:59], 0 offset:212
	v_mul_f64 v[58:59], v[106:107], s[36:37]
	v_add_f64 v[36:37], v[56:57], v[36:37]
	s_clause 0x1
	buffer_load_dword v56, off, s[56:59], 0 offset:216
	buffer_load_dword v57, off, s[56:59], 0 offset:220
	s_waitcnt vmcnt(12)
	v_add_f64 v[58:59], v[58:59], -v[64:65]
	v_mul_f64 v[64:65], v[124:125], s[30:31]
	v_add_f64 v[38:39], v[58:59], v[38:39]
	s_waitcnt vmcnt(10)
	v_add_f64 v[64:65], v[70:71], v[64:65]
	v_mul_f64 v[70:71], v[112:113], s[30:31]
	v_mul_f64 v[58:59], v[98:99], s[36:37]
	v_add_f64 v[36:37], v[64:65], v[36:37]
	s_waitcnt vmcnt(8)
	v_add_f64 v[70:71], v[70:71], -v[84:85]
	v_mul_f64 v[84:85], v[134:135], s[22:23]
	v_add_f64 v[38:39], v[70:71], v[38:39]
	s_waitcnt vmcnt(6)
	v_add_f64 v[84:85], v[86:87], v[84:85]
	v_mul_f64 v[70:71], v[112:113], s[14:15]
	v_mul_f64 v[86:87], v[96:97], s[42:43]
	v_add_f64 v[36:37], v[84:85], v[36:37]
	v_add_f64 v[70:71], v[70:71], -v[234:235]
	v_mul_f64 v[84:85], v[134:135], s[4:5]
	v_add_f64 v[84:85], v[146:147], v[84:85]
	v_mul_f64 v[146:147], v[116:117], s[40:41]
	s_waitcnt vmcnt(4)
	v_add_f64 v[48:49], v[48:49], -v[50:51]
	v_mul_f64 v[50:51], v[142:143], s[16:17]
	v_add_f64 v[38:39], v[48:49], v[38:39]
	v_mul_f64 v[48:49], v[136:137], s[4:5]
	v_add_f64 v[50:51], v[218:219], v[50:51]
	s_waitcnt vmcnt(2)
	v_add_f64 v[52:53], v[52:53], -v[54:55]
	v_mul_f64 v[54:55], v[148:149], s[4:5]
	v_add_f64 v[36:37], v[50:51], v[36:37]
	s_waitcnt vmcnt(0)
	v_add_f64 v[48:49], v[48:49], -v[56:57]
	s_clause 0x3
	buffer_load_dword v56, off, s[56:59], 0 offset:176
	buffer_load_dword v57, off, s[56:59], 0 offset:180
	;; [unrolled: 1-line block ×4, first 2 shown]
	v_add_f64 v[54:55], v[220:221], v[54:55]
	v_add_f64 v[50:51], v[52:53], v[38:39]
	v_mul_f64 v[52:53], v[118:119], s[22:23]
	v_add_f64 v[38:39], v[54:55], v[36:37]
	v_mul_f64 v[54:55], v[92:93], s[26:27]
	;; [unrolled: 2-line block ×3, first 2 shown]
	v_mul_f64 v[50:51], v[110:111], s[36:37]
	v_add_f64 v[52:53], v[248:249], v[52:53]
	v_add_f64 v[48:49], v[224:225], v[48:49]
	;; [unrolled: 1-line block ×4, first 2 shown]
	v_mul_f64 v[48:49], v[122:123], s[4:5]
	v_add_f64 v[40:41], v[50:51], v[40:41]
	v_add_f64 v[48:49], v[48:49], -v[236:237]
	v_mul_f64 v[50:51], v[142:143], s[18:19]
	v_add_f64 v[40:41], v[52:53], v[40:41]
	v_mul_f64 v[52:53], v[128:129], s[18:19]
	v_add_f64 v[50:51], v[252:253], v[50:51]
	v_add_f64 v[52:53], v[52:53], -v[230:231]
	s_waitcnt vmcnt(2)
	v_add_f64 v[54:55], v[54:55], -v[56:57]
	s_waitcnt vmcnt(0)
	v_add_f64 v[58:59], v[58:59], -v[64:65]
	v_mul_f64 v[64:65], v[106:107], s[22:23]
	v_mul_f64 v[56:57], v[124:125], s[14:15]
	v_add_f64 v[42:43], v[54:55], v[42:43]
	v_mul_f64 v[54:55], v[148:149], s[30:31]
	v_add_f64 v[64:65], v[64:65], -v[222:223]
	v_add_f64 v[56:57], v[166:167], v[56:57]
	v_add_f64 v[42:43], v[58:59], v[42:43]
	s_clause 0x1
	buffer_load_dword v58, off, s[56:59], 0 offset:248
	buffer_load_dword v59, off, s[56:59], 0 offset:252
	v_add_f64 v[54:55], v[246:247], v[54:55]
	v_add_f64 v[40:41], v[56:57], v[40:41]
	v_mul_f64 v[56:57], v[92:93], s[36:37]
	v_add_f64 v[42:43], v[64:65], v[42:43]
	v_mul_f64 v[64:65], v[106:107], s[4:5]
	;; [unrolled: 2-line block ×3, first 2 shown]
	v_add_f64 v[42:43], v[70:71], v[42:43]
	v_add_f64 v[64:65], v[64:65], -v[242:243]
	v_mul_f64 v[70:71], v[112:113], s[16:17]
	v_add_f64 v[40:41], v[50:51], v[40:41]
	v_add_f64 v[84:85], v[178:179], v[84:85]
	;; [unrolled: 1-line block ×3, first 2 shown]
	v_mul_f64 v[48:49], v[136:137], s[30:31]
	v_add_f64 v[70:71], v[70:71], -v[89:90]
	v_mul_f64 v[89:90], v[102:103], s[10:11]
	v_add_f64 v[50:51], v[52:53], v[42:43]
	v_add_f64 v[48:49], v[48:49], -v[228:229]
	v_add_f64 v[42:43], v[54:55], v[40:41]
	v_mul_f64 v[52:53], v[110:111], s[22:23]
	v_mul_f64 v[54:55], v[118:119], s[4:5]
	v_add_f64 v[40:41], v[48:49], v[50:51]
	v_mul_f64 v[50:51], v[104:105], s[36:37]
	v_add_f64 v[52:53], v[156:157], v[52:53]
	;; [unrolled: 2-line block ×4, first 2 shown]
	v_add_f64 v[48:49], v[192:193], v[48:49]
	v_add_f64 v[44:45], v[50:51], v[44:45]
	v_mul_f64 v[50:51], v[122:123], s[30:31]
	v_add_f64 v[44:45], v[52:53], v[44:45]
	v_mul_f64 v[52:53], v[142:143], s[26:27]
	v_add_f64 v[50:51], v[50:51], -v[150:151]
	v_mul_f64 v[150:151], v[120:121], s[54:55]
	v_add_f64 v[44:45], v[54:55], v[44:45]
	v_add_f64 v[52:53], v[180:181], v[52:53]
	v_mul_f64 v[54:55], v[128:129], s[26:27]
	v_add_f64 v[44:45], v[48:49], v[44:45]
	v_mul_f64 v[48:49], v[148:149], s[14:15]
	v_add_f64 v[54:55], v[54:55], -v[152:153]
	v_mul_f64 v[152:153], v[132:133], s[6:7]
	v_add_f64 v[44:45], v[84:85], v[44:45]
	v_add_f64 v[48:49], v[174:175], v[48:49]
	v_mul_f64 v[84:85], v[142:143], s[36:37]
	v_add_f64 v[44:45], v[52:53], v[44:45]
	s_waitcnt vmcnt(0)
	v_add_f64 v[56:57], v[56:57], -v[58:59]
	v_mul_f64 v[58:59], v[98:99], s[22:23]
	v_add_f64 v[46:47], v[56:57], v[46:47]
	v_add_f64 v[58:59], v[58:59], -v[232:233]
	v_mul_f64 v[56:57], v[106:107], s[16:17]
	v_add_f64 v[46:47], v[58:59], v[46:47]
	v_add_f64 v[56:57], v[56:57], -v[250:251]
	v_add_f64 v[46:47], v[64:65], v[46:47]
	v_mul_f64 v[64:65], v[104:105], s[22:23]
	v_add_f64 v[46:47], v[70:71], v[46:47]
	v_mul_f64 v[70:71], v[110:111], s[4:5]
	;; [unrolled: 2-line block ×3, first 2 shown]
	v_add_f64 v[52:53], v[54:55], v[46:47]
	v_add_f64 v[50:51], v[50:51], -v[254:255]
	v_add_f64 v[46:47], v[48:49], v[44:45]
	v_mul_f64 v[48:49], v[104:105], s[30:31]
	v_mul_f64 v[54:55], v[98:99], s[14:15]
	v_add_f64 v[44:45], v[50:51], v[52:53]
	v_mul_f64 v[50:51], v[110:111], s[14:15]
	v_add_f64 v[48:49], v[182:183], v[48:49]
	v_mul_f64 v[52:53], v[118:119], s[16:17]
	v_add_f64 v[54:55], v[54:55], -v[240:241]
	v_add_f64 v[50:51], v[184:185], v[50:51]
	v_add_f64 v[48:49], v[48:49], v[80:81]
	v_add_f64 v[52:53], v[190:191], v[52:53]
	v_mul_f64 v[80:81], v[124:125], s[18:19]
	v_add_f64 v[48:49], v[50:51], v[48:49]
	v_mul_f64 v[50:51], v[124:125], s[36:37]
	v_add_f64 v[48:49], v[52:53], v[48:49]
	v_add_f64 v[50:51], v[194:195], v[50:51]
	v_mul_f64 v[52:53], v[134:135], s[18:19]
	v_add_f64 v[48:49], v[50:51], v[48:49]
	v_mul_f64 v[50:51], v[92:93], s[30:31]
	v_add_f64 v[52:53], v[196:197], v[52:53]
	v_add_f64 v[50:51], v[50:51], -v[226:227]
	v_add_f64 v[48:49], v[52:53], v[48:49]
	v_mul_f64 v[52:53], v[128:129], s[4:5]
	v_add_f64 v[50:51], v[50:51], v[82:83]
	v_mul_f64 v[82:83], v[134:135], s[14:15]
	v_add_f64 v[52:53], v[52:53], -v[172:173]
	v_add_f64 v[50:51], v[54:55], v[50:51]
	v_mul_f64 v[54:55], v[112:113], s[36:37]
	v_add_f64 v[50:51], v[56:57], v[50:51]
	v_add_f64 v[54:55], v[54:55], -v[160:161]
	v_mul_f64 v[56:57], v[122:123], s[18:19]
	v_add_f64 v[50:51], v[54:55], v[50:51]
	v_mul_f64 v[54:55], v[142:143], s[4:5]
	v_add_f64 v[56:57], v[56:57], -v[170:171]
	v_add_f64 v[54:55], v[186:187], v[54:55]
	v_add_f64 v[50:51], v[56:57], v[50:51]
	v_mul_f64 v[56:57], v[148:149], s[26:27]
	v_add_f64 v[48:49], v[54:55], v[48:49]
	v_mul_f64 v[54:55], v[136:137], s[26:27]
	v_add_f64 v[56:57], v[188:189], v[56:57]
	v_add_f64 v[52:53], v[52:53], v[50:51]
	v_add_f64 v[54:55], v[54:55], -v[176:177]
	v_add_f64 v[50:51], v[56:57], v[48:49]
	v_fma_f64 v[56:57], v[98:99], s[4:5], -v[89:90]
	v_add_f64 v[48:49], v[54:55], v[52:53]
	v_fma_f64 v[52:53], v[94:95], s[42:43], v[64:65]
	v_fma_f64 v[54:55], v[100:101], s[10:11], v[70:71]
	;; [unrolled: 1-line block ×4, first 2 shown]
	v_add_f64 v[52:53], v[52:53], v[78:79]
	v_mul_f64 v[78:79], v[118:119], s[30:31]
	v_add_f64 v[64:65], v[64:65], v[76:77]
	v_add_f64 v[52:53], v[54:55], v[52:53]
	v_fma_f64 v[54:55], v[108:109], s[40:41], v[78:79]
	v_add_f64 v[64:65], v[70:71], v[64:65]
	v_fma_f64 v[70:71], v[114:115], s[20:21], v[80:81]
	;; [unrolled: 2-line block ×5, first 2 shown]
	v_add_f64 v[52:53], v[54:55], v[52:53]
	v_fma_f64 v[54:55], v[92:93], s[22:23], -v[86:87]
	v_add_f64 v[54:55], v[54:55], v[62:63]
	v_mul_f64 v[62:63], v[104:105], s[16:17]
	v_add_f64 v[54:55], v[56:57], v[54:55]
	v_fma_f64 v[56:57], v[106:107], s[30:31], -v[146:147]
	v_add_f64 v[54:55], v[56:57], v[54:55]
	v_fma_f64 v[56:57], v[112:113], s[18:19], -v[150:151]
	;; [unrolled: 2-line block ×4, first 2 shown]
	v_add_f64 v[56:57], v[56:57], v[54:55]
	v_fma_f64 v[54:55], v[138:139], s[50:51], v[156:157]
	v_add_f64 v[54:55], v[54:55], v[52:53]
	v_fma_f64 v[52:53], v[136:137], s[16:17], -v[158:159]
	v_add_f64 v[52:53], v[52:53], v[56:57]
	v_fma_f64 v[56:57], v[94:95], s[50:51], v[62:63]
	v_fma_f64 v[62:63], v[94:95], s[12:13], v[62:63]
	v_add_f64 v[56:57], v[56:57], v[74:75]
	v_mul_f64 v[74:75], v[96:97], s[50:51]
	v_add_f64 v[62:63], v[62:63], v[72:73]
	v_fma_f64 v[58:59], v[92:93], s[16:17], -v[74:75]
	v_fma_f64 v[72:73], v[92:93], s[16:17], v[74:75]
	v_add_f64 v[58:59], v[58:59], v[60:61]
	v_mul_f64 v[60:61], v[110:111], s[18:19]
	v_add_f64 v[66:67], v[72:73], v[66:67]
	v_fma_f64 v[96:97], v[100:101], s[20:21], v[60:61]
	v_fma_f64 v[60:61], v[100:101], s[54:55], v[60:61]
	v_add_f64 v[56:57], v[96:97], v[56:57]
	v_mul_f64 v[96:97], v[102:103], s[20:21]
	v_add_f64 v[60:61], v[60:61], v[62:63]
	v_fma_f64 v[102:103], v[98:99], s[18:19], -v[96:97]
	v_fma_f64 v[62:63], v[98:99], s[18:19], v[96:97]
	v_add_f64 v[58:59], v[102:103], v[58:59]
	v_mul_f64 v[102:103], v[118:119], s[26:27]
	;; [unrolled: 10-line block ×5, first 2 shown]
	v_add_f64 v[62:63], v[66:67], v[62:63]
	v_mul_f64 v[142:143], v[144:145], s[24:25]
	v_fma_f64 v[132:133], v[130:131], s[48:49], v[124:125]
	v_fma_f64 v[66:67], v[130:131], s[6:7], v[124:125]
	;; [unrolled: 1-line block ×3, first 2 shown]
	v_add_f64 v[56:57], v[132:133], v[56:57]
	v_mul_f64 v[132:133], v[140:141], s[48:49]
	v_mul_f64 v[140:141], v[148:149], s[22:23]
	v_add_f64 v[60:61], v[66:67], v[60:61]
	v_fma_f64 v[66:67], v[128:129], s[14:15], v[132:133]
	v_fma_f64 v[134:135], v[128:129], s[14:15], -v[132:133]
	v_add_f64 v[66:67], v[66:67], v[62:63]
	v_fma_f64 v[62:63], v[138:139], s[42:43], v[140:141]
	v_add_f64 v[134:135], v[134:135], v[58:59]
	v_fma_f64 v[58:59], v[138:139], s[24:25], v[140:141]
	v_add_f64 v[62:63], v[62:63], v[60:61]
	v_add_f64 v[60:61], v[72:73], v[66:67]
	v_fma_f64 v[66:67], v[92:93], s[22:23], v[86:87]
	v_fma_f64 v[72:73], v[108:109], s[34:35], v[78:79]
	v_add_f64 v[58:59], v[58:59], v[56:57]
	v_fma_f64 v[56:57], v[136:137], s[22:23], -v[142:143]
	v_add_f64 v[66:67], v[66:67], v[68:69]
	v_fma_f64 v[68:69], v[98:99], s[4:5], v[89:90]
	v_add_f64 v[64:65], v[72:73], v[64:65]
	v_fma_f64 v[72:73], v[126:127], s[48:49], v[82:83]
	v_add_f64 v[56:57], v[56:57], v[134:135]
	v_add_f64 v[66:67], v[68:69], v[66:67]
	v_fma_f64 v[68:69], v[106:107], s[30:31], v[146:147]
	v_add_f64 v[64:65], v[70:71], v[64:65]
	v_fma_f64 v[70:71], v[130:131], s[46:47], v[84:85]
	;; [unrolled: 2-line block ×7, first 2 shown]
	v_add_f64 v[68:69], v[68:69], v[66:67]
	v_add_f64 v[66:67], v[72:73], v[64:65]
	;; [unrolled: 1-line block ×3, first 2 shown]
	v_mul_u32_u24_e32 v68, 0x110, v88
	v_add3_u32 v68, 0, v68, v215
	ds_write_b128 v68, v[20:23]
	ds_write_b128 v68, v[32:35] offset:16
	ds_write_b128 v68, v[36:39] offset:32
	;; [unrolled: 1-line block ×16, first 2 shown]
.LBB0_13:
	s_or_b32 exec_lo, exec_lo, s1
	s_waitcnt lgkmcnt(0)
	s_barrier
	buffer_gl0_inv
	ds_read_b128 v[28:31], v91
	ds_read_b128 v[24:27], v214 offset:1632
	ds_read_b128 v[52:55], v214 offset:3536
	;; [unrolled: 1-line block ×11, first 2 shown]
	v_cmp_gt_u32_e64 s0, 17, v88
                                        ; implicit-def: $vgpr22_vgpr23
	s_and_saveexec_b32 s1, s0
	s_cbranch_execz .LBB0_15
; %bb.14:
	ds_read_b128 v[12:15], v214 offset:3264
	ds_read_b128 v[16:19], v214 offset:6800
	;; [unrolled: 1-line block ×6, first 2 shown]
.LBB0_15:
	s_or_b32 exec_lo, exec_lo, s1
	v_and_b32_e32 v72, 0xff, v88
	v_add_nc_u16 v73, v88, 0x66
	s_mov_b32 s4, 0xe8584caa
	s_mov_b32 s5, 0x3febb67a
	;; [unrolled: 1-line block ×3, first 2 shown]
	v_mul_lo_u16 v72, 0xf1, v72
	v_and_b32_e32 v74, 0xff, v73
	s_mov_b32 s6, s4
	v_lshrrev_b16 v87, 12, v72
	v_mul_lo_u16 v72, 0xf1, v74
	v_mul_lo_u16 v74, v87, 17
	v_lshrrev_b16 v126, 12, v72
	v_mov_b32_e32 v72, 5
	v_sub_nc_u16 v127, v88, v74
	v_mul_lo_u16 v74, v126, 17
	v_mul_u32_u24_sdwa v75, v127, v72 dst_sel:DWORD dst_unused:UNUSED_PAD src0_sel:BYTE_0 src1_sel:DWORD
	v_sub_nc_u16 v128, v73, v74
	v_lshlrev_b32_e32 v85, 4, v75
	v_mul_u32_u24_sdwa v81, v128, v72 dst_sel:DWORD dst_unused:UNUSED_PAD src0_sel:BYTE_0 src1_sel:DWORD
	s_clause 0x1
	global_load_dwordx4 v[73:76], v85, s[8:9] offset:32
	global_load_dwordx4 v[77:80], v85, s[8:9] offset:64
	v_lshlrev_b32_e32 v86, 4, v81
	s_clause 0x7
	global_load_dwordx4 v[81:84], v86, s[8:9] offset:32
	global_load_dwordx4 v[92:95], v86, s[8:9] offset:64
	global_load_dwordx4 v[96:99], v85, s[8:9]
	global_load_dwordx4 v[100:103], v86, s[8:9]
	global_load_dwordx4 v[104:107], v85, s[8:9] offset:16
	global_load_dwordx4 v[108:111], v85, s[8:9] offset:48
	;; [unrolled: 1-line block ×4, first 2 shown]
	s_waitcnt vmcnt(0) lgkmcnt(0)
	s_barrier
	buffer_gl0_inv
	v_mul_f64 v[120:121], v[58:59], v[83:84]
	v_mul_f64 v[85:86], v[66:67], v[75:76]
	;; [unrolled: 1-line block ×10, first 2 shown]
	v_fma_f64 v[56:57], v[56:57], v[81:82], -v[120:121]
	v_fma_f64 v[64:65], v[64:65], v[73:74], -v[85:86]
	v_fma_f64 v[66:67], v[66:67], v[73:74], v[75:76]
	v_fma_f64 v[70:71], v[70:71], v[77:78], v[89:90]
	v_fma_f64 v[68:69], v[68:69], v[77:78], -v[79:80]
	v_mul_f64 v[73:74], v[50:51], v[102:103]
	v_mul_f64 v[75:76], v[48:49], v[102:103]
	v_fma_f64 v[58:59], v[58:59], v[81:82], v[83:84]
	v_fma_f64 v[62:63], v[62:63], v[92:93], v[122:123]
	v_fma_f64 v[60:61], v[60:61], v[92:93], -v[94:95]
	v_mul_f64 v[77:78], v[42:43], v[106:107]
	v_mul_f64 v[79:80], v[40:41], v[106:107]
	;; [unrolled: 1-line block ×4, first 2 shown]
	v_fma_f64 v[52:53], v[52:53], v[96:97], -v[124:125]
	v_fma_f64 v[54:55], v[54:55], v[96:97], v[98:99]
	v_mul_f64 v[92:93], v[34:35], v[114:115]
	v_mul_f64 v[94:95], v[32:33], v[114:115]
	v_mul_f64 v[96:97], v[38:39], v[118:119]
	v_mul_f64 v[98:99], v[36:37], v[118:119]
	v_add_f64 v[85:86], v[66:67], v[70:71]
	v_add_f64 v[89:90], v[64:65], v[68:69]
	v_fma_f64 v[48:49], v[48:49], v[100:101], -v[73:74]
	v_fma_f64 v[50:51], v[50:51], v[100:101], v[75:76]
	v_add_f64 v[73:74], v[58:59], v[62:63]
	v_add_f64 v[75:76], v[56:57], v[60:61]
	v_fma_f64 v[40:41], v[40:41], v[104:105], -v[77:78]
	v_fma_f64 v[42:43], v[42:43], v[104:105], v[79:80]
	v_fma_f64 v[44:45], v[44:45], v[108:109], -v[81:82]
	v_fma_f64 v[46:47], v[46:47], v[108:109], v[83:84]
	v_add_f64 v[77:78], v[66:67], -v[70:71]
	v_add_f64 v[79:80], v[64:65], -v[68:69]
	v_fma_f64 v[81:82], v[85:86], -0.5, v[54:55]
	v_fma_f64 v[83:84], v[89:90], -0.5, v[52:53]
	v_fma_f64 v[85:86], v[32:33], v[112:113], -v[92:93]
	v_fma_f64 v[33:34], v[34:35], v[112:113], v[94:95]
	v_fma_f64 v[35:36], v[36:37], v[116:117], -v[96:97]
	v_fma_f64 v[37:38], v[38:39], v[116:117], v[98:99]
	v_add_f64 v[89:90], v[58:59], -v[62:63]
	v_add_f64 v[92:93], v[56:57], -v[60:61]
	v_fma_f64 v[73:74], v[73:74], -0.5, v[50:51]
	v_fma_f64 v[75:76], v[75:76], -0.5, v[48:49]
	v_add_f64 v[94:95], v[40:41], v[44:45]
	v_add_f64 v[98:99], v[42:43], v[46:47]
	v_add_f64 v[100:101], v[42:43], -v[46:47]
	v_add_f64 v[42:43], v[30:31], v[42:43]
	v_and_b32_e32 v39, 0xffff, v87
	v_add_f64 v[96:97], v[28:29], v[40:41]
	v_add_f64 v[52:53], v[52:53], v[64:65]
	;; [unrolled: 1-line block ×4, first 2 shown]
	v_mad_u32_u24 v87, 0x660, v39, 0
	v_add_f64 v[39:40], v[40:41], -v[44:45]
	v_add_f64 v[50:51], v[50:51], v[58:59]
	v_fma_f64 v[102:103], v[79:80], s[6:7], v[81:82]
	v_fma_f64 v[104:105], v[77:78], s[6:7], v[83:84]
	;; [unrolled: 1-line block ×4, first 2 shown]
	v_add_f64 v[81:82], v[85:86], v[35:36]
	v_add_f64 v[83:84], v[33:34], v[37:38]
	;; [unrolled: 1-line block ×4, first 2 shown]
	v_fma_f64 v[106:107], v[92:93], s[6:7], v[73:74]
	v_fma_f64 v[108:109], v[89:90], s[6:7], v[75:76]
	;; [unrolled: 1-line block ×4, first 2 shown]
	v_fma_f64 v[28:29], v[94:95], -0.5, v[28:29]
	v_fma_f64 v[30:31], v[98:99], -0.5, v[30:31]
	v_add_f64 v[56:57], v[85:86], -v[35:36]
	v_add_f64 v[33:34], v[33:34], -v[37:38]
	v_add_f64 v[41:42], v[42:43], v[46:47]
	v_add_f64 v[44:45], v[96:97], v[44:45]
	;; [unrolled: 1-line block ×4, first 2 shown]
	v_mov_b32_e32 v32, 4
	v_mul_f64 v[58:59], v[102:103], s[4:5]
	v_mul_f64 v[85:86], v[104:105], -0.5
	v_mul_f64 v[89:90], v[77:78], s[6:7]
	v_mul_f64 v[92:93], v[79:80], -0.5
	v_fma_f64 v[24:25], v[81:82], -0.5, v[24:25]
	v_fma_f64 v[26:27], v[83:84], -0.5, v[26:27]
	v_add_f64 v[66:67], v[66:67], v[37:38]
	v_add_f64 v[37:38], v[48:49], v[60:61]
	v_mul_f64 v[46:47], v[106:107], s[4:5]
	v_mul_f64 v[81:82], v[108:109], -0.5
	v_mul_f64 v[83:84], v[75:76], s[6:7]
	v_mul_f64 v[94:95], v[73:74], -0.5
	v_add_f64 v[48:49], v[50:51], v[62:63]
	v_fma_f64 v[50:51], v[100:101], s[4:5], v[28:29]
	v_fma_f64 v[62:63], v[39:40], s[6:7], v[30:31]
	;; [unrolled: 1-line block ×4, first 2 shown]
	v_add_f64 v[64:65], v[64:65], v[35:36]
	v_add_f64 v[28:29], v[44:45], -v[52:53]
	v_add_f64 v[30:31], v[41:42], -v[54:55]
	v_fma_f64 v[58:59], v[77:78], 0.5, v[58:59]
	v_fma_f64 v[70:71], v[79:80], s[4:5], v[85:86]
	v_fma_f64 v[77:78], v[102:103], 0.5, v[89:90]
	v_fma_f64 v[79:80], v[104:105], s[6:7], v[92:93]
	v_fma_f64 v[85:86], v[33:34], s[4:5], v[24:25]
	;; [unrolled: 1-line block ×5, first 2 shown]
	v_fma_f64 v[75:76], v[75:76], 0.5, v[46:47]
	v_fma_f64 v[73:74], v[73:74], s[4:5], v[81:82]
	v_fma_f64 v[81:82], v[106:107], 0.5, v[83:84]
	v_fma_f64 v[83:84], v[108:109], s[6:7], v[94:95]
	v_add_f64 v[24:25], v[44:45], v[52:53]
	v_add_f64 v[26:27], v[41:42], v[54:55]
	;; [unrolled: 1-line block ×3, first 2 shown]
	v_add_f64 v[39:40], v[66:67], -v[48:49]
	v_and_b32_e32 v94, 0xffff, v126
	v_add_f64 v[33:34], v[64:65], v[37:38]
	v_add_f64 v[37:38], v[64:65], -v[37:38]
	v_lshlrev_b32_sdwa v95, v32, v127 dst_sel:DWORD dst_unused:UNUSED_PAD src0_sel:DWORD src1_sel:BYTE_0
	v_add_f64 v[41:42], v[50:51], v[58:59]
	v_add_f64 v[45:46], v[60:61], v[70:71]
	;; [unrolled: 1-line block ×4, first 2 shown]
	v_add_f64 v[49:50], v[50:51], -v[58:59]
	v_add_f64 v[51:52], v[62:63], -v[77:78]
	v_add_f64 v[53:54], v[60:61], -v[70:71]
	v_add_f64 v[55:56], v[68:69], -v[79:80]
	v_add_f64 v[57:58], v[85:86], v[75:76]
	v_add_f64 v[61:62], v[89:90], v[73:74]
	;; [unrolled: 1-line block ×4, first 2 shown]
	v_add_f64 v[65:66], v[85:86], -v[75:76]
	v_add_f64 v[67:68], v[92:93], -v[81:82]
	;; [unrolled: 1-line block ×4, first 2 shown]
	v_mad_u32_u24 v69, 0x660, v94, 0
	v_lshlrev_b32_sdwa v70, v32, v128 dst_sel:DWORD dst_unused:UNUSED_PAD src0_sel:DWORD src1_sel:BYTE_0
	v_add3_u32 v71, v87, v95, v215
	v_add3_u32 v69, v69, v70, v215
	ds_write_b128 v71, v[24:27]
	ds_write_b128 v71, v[28:31] offset:816
	ds_write_b128 v71, v[41:44] offset:272
	;; [unrolled: 1-line block ×5, first 2 shown]
	ds_write_b128 v69, v[33:36]
	ds_write_b128 v69, v[37:40] offset:816
	ds_write_b128 v69, v[57:60] offset:272
	;; [unrolled: 1-line block ×5, first 2 shown]
	s_and_saveexec_b32 s1, s0
	s_cbranch_execz .LBB0_17
; %bb.16:
	v_add_nc_u32_e32 v24, 0xcc, v88
	v_mov_b32_e32 v25, 0xf0f1
	v_mul_u32_u24_sdwa v25, v24, v25 dst_sel:DWORD dst_unused:UNUSED_PAD src0_sel:WORD_0 src1_sel:DWORD
	v_lshrrev_b32_e32 v25, 20, v25
	v_mul_lo_u16 v25, v25, 17
	v_sub_nc_u16 v51, v24, v25
	v_mul_u32_u24_sdwa v24, v51, v72 dst_sel:DWORD dst_unused:UNUSED_PAD src0_sel:WORD_0 src1_sel:DWORD
	v_lshlrev_b32_e32 v41, 4, v24
	s_clause 0x4
	global_load_dwordx4 v[24:27], v41, s[8:9] offset:32
	global_load_dwordx4 v[28:31], v41, s[8:9] offset:64
	global_load_dwordx4 v[33:36], v41, s[8:9]
	global_load_dwordx4 v[37:40], v41, s[8:9] offset:16
	global_load_dwordx4 v[41:44], v41, s[8:9] offset:48
	s_waitcnt vmcnt(4)
	v_mul_f64 v[45:46], v[6:7], v[26:27]
	v_mul_f64 v[26:27], v[4:5], v[26:27]
	s_waitcnt vmcnt(3)
	v_mul_f64 v[47:48], v[20:21], v[30:31]
	v_mul_f64 v[30:31], v[22:23], v[30:31]
	;; [unrolled: 3-line block ×3, first 2 shown]
	v_fma_f64 v[4:5], v[4:5], v[24:25], -v[45:46]
	v_fma_f64 v[6:7], v[6:7], v[24:25], v[26:27]
	v_fma_f64 v[22:23], v[22:23], v[28:29], v[47:48]
	v_fma_f64 v[20:21], v[20:21], v[28:29], -v[30:31]
	s_waitcnt vmcnt(1)
	v_mul_f64 v[24:25], v[10:11], v[39:40]
	v_mul_f64 v[26:27], v[8:9], v[39:40]
	s_waitcnt vmcnt(0)
	v_mul_f64 v[28:29], v[0:1], v[43:44]
	v_fma_f64 v[16:17], v[16:17], v[33:34], -v[49:50]
	v_fma_f64 v[18:19], v[18:19], v[33:34], v[35:36]
	v_mul_f64 v[35:36], v[2:3], v[43:44]
	v_add_f64 v[30:31], v[6:7], v[22:23]
	v_add_f64 v[33:34], v[4:5], v[20:21]
	v_fma_f64 v[8:9], v[8:9], v[37:38], -v[24:25]
	v_fma_f64 v[10:11], v[10:11], v[37:38], v[26:27]
	v_fma_f64 v[2:3], v[2:3], v[41:42], v[28:29]
	v_add_f64 v[24:25], v[6:7], -v[22:23]
	v_add_f64 v[26:27], v[4:5], -v[20:21]
	v_fma_f64 v[0:1], v[0:1], v[41:42], -v[35:36]
	v_add_f64 v[6:7], v[18:19], v[6:7]
	v_add_f64 v[4:5], v[16:17], v[4:5]
	v_fma_f64 v[28:29], v[30:31], -0.5, v[18:19]
	v_fma_f64 v[30:31], v[33:34], -0.5, v[16:17]
	v_add_f64 v[33:34], v[10:11], v[2:3]
	v_add_f64 v[39:40], v[8:9], v[0:1]
	;; [unrolled: 1-line block ×4, first 2 shown]
	v_fma_f64 v[35:36], v[26:27], s[4:5], v[28:29]
	v_fma_f64 v[37:38], v[24:25], s[4:5], v[30:31]
	;; [unrolled: 1-line block ×4, first 2 shown]
	v_add_f64 v[28:29], v[8:9], -v[0:1]
	v_add_f64 v[30:31], v[14:15], v[10:11]
	v_add_f64 v[8:9], v[12:13], v[8:9]
	v_fma_f64 v[14:15], v[33:34], -0.5, v[14:15]
	v_add_f64 v[10:11], v[10:11], -v[2:3]
	v_fma_f64 v[12:13], v[39:40], -0.5, v[12:13]
	v_mul_f64 v[16:17], v[35:36], -0.5
	v_mul_f64 v[18:19], v[37:38], s[6:7]
	v_mul_f64 v[33:34], v[26:27], s[4:5]
	v_mul_f64 v[39:40], v[24:25], -0.5
	v_add_f64 v[30:31], v[30:31], v[2:3]
	v_add_f64 v[8:9], v[8:9], v[0:1]
	v_fma_f64 v[20:21], v[28:29], s[4:5], v[14:15]
	v_fma_f64 v[22:23], v[28:29], s[6:7], v[14:15]
	;; [unrolled: 1-line block ×3, first 2 shown]
	v_fma_f64 v[24:25], v[26:27], 0.5, v[18:19]
	v_fma_f64 v[26:27], v[10:11], s[6:7], v[12:13]
	v_fma_f64 v[12:13], v[10:11], s[4:5], v[12:13]
	v_fma_f64 v[28:29], v[37:38], 0.5, v[33:34]
	v_fma_f64 v[33:34], v[35:36], s[4:5], v[39:40]
	v_add_f64 v[2:3], v[30:31], -v[6:7]
	v_add_f64 v[0:1], v[8:9], -v[4:5]
	v_add_f64 v[6:7], v[30:31], v[6:7]
	v_add_f64 v[4:5], v[8:9], v[4:5]
	v_add_f64 v[10:11], v[20:21], -v[16:17]
	v_add_f64 v[14:15], v[22:23], -v[24:25]
	v_add_f64 v[18:19], v[20:21], v[16:17]
	v_add_f64 v[22:23], v[22:23], v[24:25]
	;; [unrolled: 1-line block ×4, first 2 shown]
	v_add_f64 v[12:13], v[12:13], -v[28:29]
	v_add_f64 v[8:9], v[26:27], -v[33:34]
	v_lshlrev_b32_sdwa v24, v32, v51 dst_sel:DWORD dst_unused:UNUSED_PAD src0_sel:DWORD src1_sel:WORD_0
	v_add3_u32 v24, 0, v24, v215
	ds_write_b128 v24, v[4:7] offset:19584
	ds_write_b128 v24, v[0:3] offset:20400
	;; [unrolled: 1-line block ×6, first 2 shown]
.LBB0_17:
	s_or_b32 exec_lo, exec_lo, s1
	v_mul_u32_u24_e32 v0, 12, v88
	s_waitcnt lgkmcnt(0)
	s_barrier
	buffer_gl0_inv
	s_mov_b32 s22, 0x42a4c3d2
	v_lshlrev_b32_e32 v36, 4, v0
	s_mov_b32 s24, 0x66966769
	s_mov_b32 s16, 0x2ef20147
	;; [unrolled: 1-line block ×4, first 2 shown]
	s_clause 0xb
	global_load_dwordx4 v[24:27], v36, s[8:9] offset:1360
	global_load_dwordx4 v[16:19], v36, s[8:9] offset:1376
	;; [unrolled: 1-line block ×12, first 2 shown]
	ds_read_b128 v[36:39], v214 offset:1632
	ds_read_b128 v[80:83], v91
	ds_read_b128 v[40:43], v214 offset:3264
	ds_read_b128 v[44:47], v214 offset:4896
	s_mov_b32 s21, 0xbfddbe06
	s_mov_b32 s20, 0x4267c47c
	;; [unrolled: 1-line block ×25, first 2 shown]
	s_waitcnt vmcnt(11) lgkmcnt(3)
	v_mul_f64 v[48:49], v[38:39], v[26:27]
	v_mul_f64 v[26:27], v[36:37], v[26:27]
	s_waitcnt vmcnt(10) lgkmcnt(1)
	v_mul_f64 v[50:51], v[42:43], v[18:19]
	v_mul_f64 v[18:19], v[40:41], v[18:19]
	v_fma_f64 v[76:77], v[36:37], v[24:25], -v[48:49]
	v_fma_f64 v[78:79], v[38:39], v[24:25], v[26:27]
	v_fma_f64 v[36:37], v[40:41], v[16:17], -v[50:51]
	v_fma_f64 v[38:39], v[42:43], v[16:17], v[18:19]
	ds_read_b128 v[16:19], v214 offset:6528
	ds_read_b128 v[24:27], v214 offset:8160
	s_waitcnt vmcnt(9) lgkmcnt(2)
	v_mul_f64 v[48:49], v[46:47], v[10:11]
	v_mul_f64 v[10:11], v[44:45], v[10:11]
	s_waitcnt vmcnt(8) lgkmcnt(1)
	v_mul_f64 v[40:41], v[18:19], v[2:3]
	v_mul_f64 v[2:3], v[16:17], v[2:3]
	;; [unrolled: 3-line block ×3, first 2 shown]
	v_fma_f64 v[44:45], v[44:45], v[8:9], -v[48:49]
	v_fma_f64 v[46:47], v[46:47], v[8:9], v[10:11]
	v_fma_f64 v[48:49], v[16:17], v[0:1], -v[40:41]
	v_fma_f64 v[50:51], v[18:19], v[0:1], v[2:3]
	ds_read_b128 v[0:3], v214 offset:9792
	ds_read_b128 v[8:11], v214 offset:11424
	v_fma_f64 v[52:53], v[24:25], v[28:29], -v[42:43]
	v_fma_f64 v[54:55], v[26:27], v[28:29], v[30:31]
	s_waitcnt vmcnt(6) lgkmcnt(1)
	v_mul_f64 v[16:17], v[2:3], v[22:23]
	v_mul_f64 v[18:19], v[0:1], v[22:23]
	s_waitcnt vmcnt(5) lgkmcnt(0)
	v_mul_f64 v[24:25], v[8:9], v[14:15]
	v_mul_f64 v[22:23], v[10:11], v[14:15]
	v_fma_f64 v[60:61], v[0:1], v[20:21], -v[16:17]
	v_fma_f64 v[62:63], v[2:3], v[20:21], v[18:19]
	ds_read_b128 v[0:3], v214 offset:13056
	ds_read_b128 v[14:17], v214 offset:14688
	v_fma_f64 v[58:59], v[10:11], v[12:13], v[24:25]
	v_fma_f64 v[56:57], v[8:9], v[12:13], -v[22:23]
	s_waitcnt vmcnt(4) lgkmcnt(1)
	v_mul_f64 v[18:19], v[2:3], v[6:7]
	v_mul_f64 v[10:11], v[0:1], v[6:7]
	ds_read_b128 v[6:9], v214 offset:19584
	s_waitcnt vmcnt(3) lgkmcnt(1)
	v_mul_f64 v[12:13], v[16:17], v[34:35]
	v_add_f64 v[155:156], v[62:63], -v[58:59]
	v_add_f64 v[157:158], v[60:61], -v[56:57]
	v_fma_f64 v[40:41], v[0:1], v[4:5], -v[18:19]
	v_fma_f64 v[42:43], v[2:3], v[4:5], v[10:11]
	s_waitcnt vmcnt(2) lgkmcnt(0)
	v_mul_f64 v[4:5], v[6:7], v[66:67]
	v_mul_f64 v[0:1], v[14:15], v[34:35]
	v_mul_f64 v[18:19], v[8:9], v[66:67]
	v_fma_f64 v[28:29], v[14:15], v[32:33], -v[12:13]
	v_mul_f64 v[149:150], v[155:156], s[26:27]
	v_mul_f64 v[151:152], v[157:158], s[26:27]
	;; [unrolled: 1-line block ×6, first 2 shown]
	v_add_f64 v[139:140], v[52:53], -v[40:41]
	v_add_f64 v[133:134], v[54:55], -v[42:43]
	v_fma_f64 v[20:21], v[8:9], v[64:65], v[4:5]
	v_fma_f64 v[30:31], v[16:17], v[32:33], v[0:1]
	ds_read_b128 v[0:3], v214 offset:16320
	ds_read_b128 v[8:11], v214 offset:17952
	v_fma_f64 v[22:23], v[6:7], v[64:65], -v[18:19]
	v_add_f64 v[121:122], v[48:49], -v[28:29]
	s_waitcnt vmcnt(0) lgkmcnt(0)
	s_barrier
	buffer_gl0_inv
	v_mul_f64 v[147:148], v[139:140], s[18:19]
	v_mul_f64 v[145:146], v[133:134], s[18:19]
	;; [unrolled: 1-line block ×4, first 2 shown]
	v_add_f64 v[12:13], v[78:79], -v[20:21]
	v_mul_f64 v[14:15], v[10:11], v[74:75]
	v_mul_f64 v[16:17], v[8:9], v[74:75]
	v_add_f64 v[89:90], v[78:79], v[20:21]
	v_add_f64 v[78:79], v[82:83], v[78:79]
	v_add_f64 v[119:120], v[50:51], -v[30:31]
	v_mul_f64 v[143:144], v[121:122], s[16:17]
	v_fma_f64 v[32:33], v[0:1], v[68:69], -v[4:5]
	v_fma_f64 v[34:35], v[2:3], v[68:69], v[6:7]
	v_add_f64 v[0:1], v[76:77], v[22:23]
	v_mul_f64 v[2:3], v[12:13], s[20:21]
	v_fma_f64 v[24:25], v[8:9], v[72:73], -v[14:15]
	v_mul_f64 v[4:5], v[12:13], s[22:23]
	v_fma_f64 v[26:27], v[10:11], v[72:73], v[16:17]
	v_mul_f64 v[6:7], v[12:13], s[24:25]
	v_mul_f64 v[8:9], v[12:13], s[16:17]
	;; [unrolled: 1-line block ×5, first 2 shown]
	v_fma_f64 v[14:15], v[0:1], s[0:1], -v[2:3]
	v_fma_f64 v[2:3], v[0:1], s[0:1], v[2:3]
	v_fma_f64 v[16:17], v[0:1], s[4:5], -v[4:5]
	v_fma_f64 v[4:5], v[0:1], s[4:5], v[4:5]
	v_fma_f64 v[18:19], v[0:1], s[10:11], -v[6:7]
	v_fma_f64 v[6:7], v[0:1], s[10:11], v[6:7]
	v_fma_f64 v[68:69], v[0:1], s[6:7], -v[8:9]
	v_fma_f64 v[70:71], v[0:1], s[6:7], v[8:9]
	v_fma_f64 v[72:73], v[0:1], s[14:15], -v[10:11]
	v_fma_f64 v[74:75], v[0:1], s[14:15], v[10:11]
	v_fma_f64 v[84:85], v[0:1], s[12:13], -v[12:13]
	v_fma_f64 v[86:87], v[0:1], s[12:13], v[12:13]
	v_add_f64 v[0:1], v[76:77], -v[22:23]
	v_add_f64 v[76:77], v[80:81], v[76:77]
	v_add_f64 v[117:118], v[80:81], v[14:15]
	v_add_f64 v[2:3], v[80:81], v[2:3]
	v_add_f64 v[18:19], v[80:81], v[18:19]
	v_add_f64 v[14:15], v[80:81], v[6:7]
	v_add_f64 v[111:112], v[80:81], v[68:69]
	v_add_f64 v[70:71], v[80:81], v[70:71]
	v_add_f64 v[107:108], v[80:81], v[72:73]
	v_add_f64 v[72:73], v[80:81], v[74:75]
	v_add_f64 v[153:154], v[80:81], v[86:87]
	v_mul_f64 v[64:65], v[0:1], s[16:17]
	v_mul_f64 v[12:13], v[0:1], s[24:25]
	;; [unrolled: 1-line block ×6, first 2 shown]
	s_mov_b32 s21, 0x3fddbe06
	v_fma_f64 v[100:101], v[89:90], s[6:7], v[64:65]
	v_fma_f64 v[102:103], v[89:90], s[6:7], -v[64:65]
	v_fma_f64 v[98:99], v[89:90], s[10:11], v[12:13]
	v_fma_f64 v[113:114], v[89:90], s[14:15], -v[66:67]
	;; [unrolled: 2-line block ×3, first 2 shown]
	v_fma_f64 v[104:105], v[89:90], s[14:15], v[66:67]
	v_add_f64 v[10:11], v[80:81], v[16:17]
	v_add_f64 v[64:65], v[80:81], v[4:5]
	v_fma_f64 v[92:93], v[89:90], s[0:1], v[8:9]
	v_fma_f64 v[8:9], v[89:90], s[0:1], -v[8:9]
	v_fma_f64 v[12:13], v[89:90], s[10:11], -v[12:13]
	v_fma_f64 v[115:116], v[89:90], s[12:13], v[0:1]
	v_fma_f64 v[89:90], v[89:90], s[12:13], -v[0:1]
	v_add_f64 v[109:110], v[82:83], v[100:101]
	v_add_f64 v[68:69], v[82:83], v[102:103]
	v_add_f64 v[101:102], v[38:39], -v[26:27]
	v_add_f64 v[16:17], v[82:83], v[98:99]
	v_add_f64 v[74:75], v[82:83], v[113:114]
	;; [unrolled: 1-line block ×4, first 2 shown]
	v_add_f64 v[113:114], v[46:47], -v[34:35]
	v_add_f64 v[105:106], v[82:83], v[104:105]
	v_add_f64 v[103:104], v[36:37], -v[24:25]
	v_add_f64 v[84:85], v[44:45], v[32:33]
	v_add_f64 v[92:93], v[82:83], v[92:93]
	;; [unrolled: 1-line block ×9, first 2 shown]
	v_add_f64 v[115:116], v[44:45], -v[32:33]
	v_add_f64 v[36:37], v[76:77], v[36:37]
	v_add_f64 v[38:39], v[78:79], v[38:39]
	v_mul_f64 v[125:126], v[101:102], s[22:23]
	v_mul_f64 v[129:130], v[113:114], s[24:25]
	v_mul_f64 v[127:128], v[103:104], s[22:23]
	v_mul_f64 v[131:132], v[115:116], s[24:25]
	v_add_f64 v[36:37], v[36:37], v[44:45]
	v_add_f64 v[38:39], v[38:39], v[46:47]
	v_fma_f64 v[4:5], v[80:81], s[4:5], -v[125:126]
	v_fma_f64 v[125:126], v[80:81], s[4:5], v[125:126]
	v_fma_f64 v[86:87], v[84:85], s[10:11], -v[129:130]
	v_fma_f64 v[6:7], v[82:83], s[4:5], v[127:128]
	v_add_f64 v[36:37], v[36:37], v[48:49]
	v_add_f64 v[38:39], v[38:39], v[50:51]
	;; [unrolled: 1-line block ×4, first 2 shown]
	v_fma_f64 v[125:126], v[82:83], s[4:5], -v[127:128]
	v_add_f64 v[6:7], v[6:7], v[92:93]
	v_add_f64 v[36:37], v[36:37], v[52:53]
	;; [unrolled: 1-line block ×6, first 2 shown]
	v_fma_f64 v[125:126], v[84:85], s[10:11], v[129:130]
	v_mul_f64 v[129:130], v[133:134], s[28:29]
	v_add_f64 v[36:37], v[36:37], v[60:61]
	v_add_f64 v[38:39], v[38:39], v[62:63]
	v_fma_f64 v[92:93], v[86:87], s[10:11], v[131:132]
	v_add_f64 v[2:3], v[125:126], v[2:3]
	v_fma_f64 v[125:126], v[86:87], s[10:11], -v[131:132]
	v_mul_f64 v[131:132], v[139:140], s[28:29]
	v_add_f64 v[36:37], v[36:37], v[56:57]
	v_add_f64 v[38:39], v[38:39], v[58:59]
	;; [unrolled: 1-line block ×7, first 2 shown]
	v_fma_f64 v[95:96], v[93:94], s[6:7], -v[141:142]
	v_fma_f64 v[125:126], v[93:94], s[6:7], v[141:142]
	v_mul_f64 v[141:142], v[119:120], s[30:31]
	v_add_f64 v[28:29], v[36:37], v[28:29]
	v_add_f64 v[4:5], v[95:96], v[4:5]
	;; [unrolled: 1-line block ×6, first 2 shown]
	v_fma_f64 v[117:118], v[95:96], s[6:7], v[143:144]
	v_fma_f64 v[125:126], v[95:96], s[6:7], -v[143:144]
	v_mul_f64 v[143:144], v[121:122], s[30:31]
	v_add_f64 v[30:31], v[30:31], v[34:35]
	v_add_f64 v[6:7], v[117:118], v[6:7]
	;; [unrolled: 1-line block ×4, first 2 shown]
	v_fma_f64 v[123:124], v[117:118], s[14:15], -v[145:146]
	v_fma_f64 v[125:126], v[117:118], s[14:15], v[145:146]
	v_mul_f64 v[145:146], v[113:114], s[26:27]
	v_fma_f64 v[38:39], v[117:118], s[10:11], v[129:130]
	v_add_f64 v[4:5], v[123:124], v[4:5]
	v_add_f64 v[123:124], v[54:55], v[42:43]
	v_add_f64 v[2:3], v[125:126], v[2:3]
	v_fma_f64 v[135:136], v[123:124], s[14:15], v[147:148]
	v_fma_f64 v[125:126], v[123:124], s[14:15], -v[147:148]
	v_mul_f64 v[147:148], v[115:116], s[26:27]
	v_add_f64 v[6:7], v[135:136], v[6:7]
	v_add_f64 v[135:136], v[60:61], v[56:57]
	;; [unrolled: 1-line block ×3, first 2 shown]
	v_fma_f64 v[76:77], v[86:87], s[12:13], -v[147:148]
	v_fma_f64 v[137:138], v[135:136], s[12:13], -v[149:150]
	v_fma_f64 v[0:1], v[135:136], s[12:13], v[149:150]
	v_mul_f64 v[149:150], v[101:102], s[16:17]
	v_fma_f64 v[34:35], v[135:136], s[6:7], v[197:198]
	v_add_f64 v[4:5], v[137:138], v[4:5]
	v_add_f64 v[137:138], v[62:63], v[58:59]
	;; [unrolled: 1-line block ×3, first 2 shown]
	v_fma_f64 v[48:49], v[80:81], s[6:7], v[149:150]
	v_fma_f64 v[58:59], v[84:85], s[12:13], v[145:146]
	v_fma_f64 v[127:128], v[137:138], s[12:13], -v[151:152]
	v_fma_f64 v[159:160], v[137:138], s[12:13], v[151:152]
	v_mul_f64 v[151:152], v[103:104], s[16:17]
	v_add_f64 v[48:49], v[48:49], v[64:65]
	v_fma_f64 v[64:65], v[93:94], s[14:15], v[141:142]
	v_add_f64 v[2:3], v[127:128], v[125:126]
	v_fma_f64 v[125:126], v[80:81], s[6:7], -v[149:150]
	v_add_f64 v[6:7], v[159:160], v[6:7]
	v_mul_f64 v[127:128], v[157:158], s[20:21]
	v_fma_f64 v[54:55], v[82:83], s[6:7], -v[151:152]
	v_add_f64 v[48:49], v[58:59], v[48:49]
	v_add_f64 v[10:11], v[125:126], v[10:11]
	v_fma_f64 v[125:126], v[82:83], s[6:7], v[151:152]
	v_add_f64 v[54:55], v[54:55], v[66:67]
	v_add_f64 v[48:49], v[64:65], v[48:49]
	v_fma_f64 v[64:65], v[137:138], s[6:7], -v[199:200]
	v_add_f64 v[8:9], v[125:126], v[8:9]
	v_fma_f64 v[125:126], v[84:85], s[12:13], -v[145:146]
	v_add_f64 v[54:55], v[76:77], v[54:55]
	v_add_f64 v[38:39], v[38:39], v[48:49]
	;; [unrolled: 1-line block ×4, first 2 shown]
	v_fma_f64 v[125:126], v[86:87], s[12:13], v[147:148]
	v_add_f64 v[8:9], v[125:126], v[8:9]
	v_fma_f64 v[125:126], v[93:94], s[14:15], -v[141:142]
	v_add_f64 v[10:11], v[125:126], v[10:11]
	v_fma_f64 v[125:126], v[95:96], s[14:15], v[143:144]
	v_add_f64 v[8:9], v[125:126], v[8:9]
	v_fma_f64 v[125:126], v[117:118], s[10:11], -v[129:130]
	v_add_f64 v[10:11], v[125:126], v[10:11]
	v_fma_f64 v[125:126], v[123:124], s[10:11], v[131:132]
	v_add_f64 v[159:160], v[125:126], v[8:9]
	v_mul_f64 v[125:126], v[155:156], s[20:21]
	v_fma_f64 v[8:9], v[135:136], s[0:1], -v[125:126]
	v_add_f64 v[8:9], v[8:9], v[10:11]
	v_fma_f64 v[10:11], v[137:138], s[0:1], v[127:128]
	v_add_f64 v[10:11], v[10:11], v[159:160]
	v_mul_f64 v[159:160], v[101:102], s[26:27]
	v_fma_f64 v[161:162], v[80:81], s[12:13], -v[159:160]
	v_fma_f64 v[159:160], v[80:81], s[12:13], v[159:160]
	v_add_f64 v[18:19], v[161:162], v[18:19]
	v_mul_f64 v[161:162], v[103:104], s[26:27]
	v_add_f64 v[14:15], v[159:160], v[14:15]
	s_mov_b32 s27, 0x3fcea1e5
	v_fma_f64 v[163:164], v[82:83], s[12:13], v[161:162]
	v_fma_f64 v[159:160], v[82:83], s[12:13], -v[161:162]
	v_fma_f64 v[161:162], v[137:138], s[14:15], -v[179:180]
	v_add_f64 v[16:17], v[163:164], v[16:17]
	v_mul_f64 v[163:164], v[113:114], s[34:35]
	v_add_f64 v[12:13], v[159:160], v[12:13]
	v_fma_f64 v[165:166], v[84:85], s[6:7], -v[163:164]
	v_fma_f64 v[159:160], v[84:85], s[6:7], v[163:164]
	v_add_f64 v[18:19], v[165:166], v[18:19]
	v_mul_f64 v[165:166], v[115:116], s[34:35]
	v_add_f64 v[14:15], v[159:160], v[14:15]
	v_fma_f64 v[167:168], v[86:87], s[6:7], v[165:166]
	v_fma_f64 v[159:160], v[86:87], s[6:7], -v[165:166]
	v_add_f64 v[16:17], v[167:168], v[16:17]
	v_mul_f64 v[167:168], v[119:120], s[20:21]
	v_add_f64 v[12:13], v[159:160], v[12:13]
	v_fma_f64 v[169:170], v[93:94], s[0:1], -v[167:168]
	v_fma_f64 v[159:160], v[93:94], s[0:1], v[167:168]
	v_add_f64 v[18:19], v[169:170], v[18:19]
	v_mul_f64 v[169:170], v[121:122], s[20:21]
	v_add_f64 v[14:15], v[159:160], v[14:15]
	v_fma_f64 v[171:172], v[95:96], s[0:1], v[169:170]
	v_fma_f64 v[159:160], v[95:96], s[0:1], -v[169:170]
	v_add_f64 v[16:17], v[171:172], v[16:17]
	v_mul_f64 v[171:172], v[133:134], s[22:23]
	v_add_f64 v[12:13], v[159:160], v[12:13]
	v_fma_f64 v[173:174], v[117:118], s[4:5], -v[171:172]
	v_fma_f64 v[159:160], v[117:118], s[4:5], v[171:172]
	v_add_f64 v[18:19], v[173:174], v[18:19]
	v_mul_f64 v[173:174], v[139:140], s[22:23]
	v_add_f64 v[14:15], v[159:160], v[14:15]
	v_fma_f64 v[159:160], v[123:124], s[4:5], -v[173:174]
	v_fma_f64 v[175:176], v[123:124], s[4:5], v[173:174]
	v_add_f64 v[159:160], v[159:160], v[12:13]
	v_fma_f64 v[12:13], v[135:136], s[14:15], v[177:178]
	v_add_f64 v[175:176], v[175:176], v[16:17]
	v_fma_f64 v[16:17], v[135:136], s[14:15], -v[177:178]
	v_add_f64 v[12:13], v[12:13], v[14:15]
	v_add_f64 v[14:15], v[161:162], v[159:160]
	v_mul_f64 v[159:160], v[101:102], s[30:31]
	v_add_f64 v[16:17], v[16:17], v[18:19]
	v_fma_f64 v[18:19], v[137:138], s[14:15], v[179:180]
	v_fma_f64 v[161:162], v[80:81], s[14:15], -v[159:160]
	v_fma_f64 v[44:45], v[80:81], s[14:15], v[159:160]
	v_add_f64 v[18:19], v[18:19], v[175:176]
	v_add_f64 v[111:112], v[161:162], v[111:112]
	v_mul_f64 v[161:162], v[103:104], s[30:31]
	v_add_f64 v[44:45], v[44:45], v[70:71]
	v_fma_f64 v[70:71], v[95:96], s[14:15], -v[143:144]
	v_fma_f64 v[163:164], v[82:83], s[14:15], v[161:162]
	v_fma_f64 v[52:53], v[82:83], s[14:15], -v[161:162]
	v_add_f64 v[109:110], v[163:164], v[109:110]
	v_mul_f64 v[163:164], v[113:114], s[20:21]
	v_add_f64 v[52:53], v[52:53], v[68:69]
	v_fma_f64 v[165:166], v[84:85], s[0:1], -v[163:164]
	v_fma_f64 v[60:61], v[84:85], s[0:1], v[163:164]
	v_add_f64 v[111:112], v[165:166], v[111:112]
	v_mul_f64 v[165:166], v[115:116], s[20:21]
	v_add_f64 v[44:45], v[60:61], v[44:45]
	v_fma_f64 v[60:61], v[123:124], s[10:11], -v[131:132]
	v_fma_f64 v[167:168], v[86:87], s[0:1], v[165:166]
	v_fma_f64 v[78:79], v[86:87], s[0:1], -v[165:166]
	v_add_f64 v[109:110], v[167:168], v[109:110]
	v_mul_f64 v[167:168], v[119:120], s[24:25]
	v_add_f64 v[52:53], v[78:79], v[52:53]
	v_fma_f64 v[169:170], v[93:94], s[10:11], -v[167:168]
	v_fma_f64 v[40:41], v[93:94], s[10:11], v[167:168]
	v_add_f64 v[111:112], v[169:170], v[111:112]
	v_mul_f64 v[169:170], v[121:122], s[24:25]
	s_mov_b32 s25, 0x3fea55e2
	s_mov_b32 s24, s22
	v_add_f64 v[40:41], v[40:41], v[44:45]
	v_mul_f64 v[177:178], v[155:156], s[24:25]
	v_mul_f64 v[179:180], v[157:158], s[24:25]
	;; [unrolled: 1-line block ×4, first 2 shown]
	v_fma_f64 v[171:172], v[95:96], s[10:11], v[169:170]
	v_fma_f64 v[66:67], v[95:96], s[10:11], -v[169:170]
	v_fma_f64 v[32:33], v[135:136], s[4:5], v[177:178]
	v_add_f64 v[109:110], v[171:172], v[109:110]
	v_mul_f64 v[171:172], v[133:134], s[26:27]
	v_fma_f64 v[173:174], v[117:118], s[12:13], -v[171:172]
	v_fma_f64 v[36:37], v[117:118], s[12:13], v[171:172]
	v_add_f64 v[111:112], v[173:174], v[111:112]
	v_mul_f64 v[173:174], v[139:140], s[26:27]
	v_add_f64 v[36:37], v[36:37], v[40:41]
	v_fma_f64 v[175:176], v[123:124], s[12:13], v[173:174]
	v_fma_f64 v[58:59], v[123:124], s[12:13], -v[173:174]
	v_add_f64 v[24:25], v[32:33], v[36:37]
	v_add_f64 v[36:37], v[48:49], v[22:23]
	;; [unrolled: 1-line block ×3, first 2 shown]
	v_fma_f64 v[109:110], v[135:136], s[4:5], -v[177:178]
	v_add_f64 v[109:110], v[109:110], v[111:112]
	v_fma_f64 v[111:112], v[137:138], s[4:5], v[179:180]
	v_add_f64 v[111:112], v[111:112], v[175:176]
	v_mul_f64 v[175:176], v[101:102], s[28:29]
	v_mul_f64 v[101:102], v[101:102], s[20:21]
	v_fma_f64 v[181:182], v[80:81], s[10:11], -v[175:176]
	v_fma_f64 v[46:47], v[80:81], s[10:11], v[175:176]
	v_add_f64 v[107:108], v[181:182], v[107:108]
	v_mul_f64 v[181:182], v[103:104], s[28:29]
	v_mul_f64 v[103:104], v[103:104], s[20:21]
	v_add_f64 v[46:47], v[46:47], v[72:73]
	v_fma_f64 v[183:184], v[82:83], s[10:11], v[181:182]
	v_fma_f64 v[50:51], v[82:83], s[10:11], -v[181:182]
	v_add_f64 v[105:106], v[183:184], v[105:106]
	v_mul_f64 v[183:184], v[113:114], s[22:23]
	v_mul_f64 v[113:114], v[113:114], s[18:19]
	v_add_f64 v[50:51], v[50:51], v[74:75]
	v_fma_f64 v[185:186], v[84:85], s[4:5], -v[183:184]
	v_fma_f64 v[56:57], v[84:85], s[4:5], v[183:184]
	v_add_f64 v[107:108], v[185:186], v[107:108]
	v_mul_f64 v[185:186], v[115:116], s[22:23]
	v_mul_f64 v[115:116], v[115:116], s[18:19]
	v_add_f64 v[46:47], v[56:57], v[46:47]
	v_fma_f64 v[187:188], v[86:87], s[4:5], v[185:186]
	v_fma_f64 v[62:63], v[86:87], s[4:5], -v[185:186]
	v_add_f64 v[105:106], v[187:188], v[105:106]
	v_mul_f64 v[187:188], v[119:120], s[26:27]
	v_mul_f64 v[119:120], v[119:120], s[24:25]
	v_add_f64 v[50:51], v[62:63], v[50:51]
	v_fma_f64 v[189:190], v[93:94], s[12:13], -v[187:188]
	v_fma_f64 v[42:43], v[93:94], s[12:13], v[187:188]
	v_add_f64 v[107:108], v[189:190], v[107:108]
	v_mul_f64 v[189:190], v[121:122], s[26:27]
	v_mul_f64 v[121:122], v[121:122], s[24:25]
	v_add_f64 v[42:43], v[42:43], v[46:47]
	v_add_f64 v[46:47], v[66:67], v[52:53]
	v_fma_f64 v[52:53], v[135:136], s[0:1], v[125:126]
	v_fma_f64 v[66:67], v[137:138], s[0:1], -v[127:128]
	v_fma_f64 v[191:192], v[95:96], s[12:13], v[189:190]
	v_fma_f64 v[68:69], v[95:96], s[12:13], -v[189:190]
	v_add_f64 v[32:33], v[52:53], v[38:39]
	v_add_f64 v[105:106], v[191:192], v[105:106]
	v_mul_f64 v[191:192], v[133:134], s[20:21]
	v_mul_f64 v[133:134], v[133:134], s[16:17]
	v_add_f64 v[44:45], v[68:69], v[50:51]
	v_add_f64 v[50:51], v[70:71], v[54:55]
	v_fma_f64 v[54:55], v[137:138], s[4:5], -v[179:180]
	v_fma_f64 v[193:194], v[117:118], s[0:1], -v[191:192]
	v_fma_f64 v[56:57], v[117:118], s[0:1], v[191:192]
	v_add_f64 v[107:108], v[193:194], v[107:108]
	v_mul_f64 v[193:194], v[139:140], s[20:21]
	v_mul_f64 v[139:140], v[139:140], s[16:17]
	v_add_f64 v[40:41], v[56:57], v[42:43]
	v_fma_f64 v[195:196], v[123:124], s[0:1], v[193:194]
	v_fma_f64 v[62:63], v[123:124], s[0:1], -v[193:194]
	v_add_f64 v[28:29], v[34:35], v[40:41]
	v_add_f64 v[195:196], v[195:196], v[105:106]
	v_fma_f64 v[105:106], v[135:136], s[6:7], -v[197:198]
	v_add_f64 v[42:43], v[62:63], v[44:45]
	v_add_f64 v[44:45], v[58:59], v[46:47]
	;; [unrolled: 1-line block ×5, first 2 shown]
	v_fma_f64 v[107:108], v[137:138], s[6:7], v[199:200]
	v_add_f64 v[30:31], v[64:65], v[42:43]
	v_add_f64 v[26:27], v[54:55], v[44:45]
	;; [unrolled: 1-line block ×5, first 2 shown]
	v_fma_f64 v[195:196], v[80:81], s[0:1], -v[101:102]
	v_fma_f64 v[101:102], v[80:81], s[0:1], v[101:102]
	v_add_f64 v[99:100], v[195:196], v[99:100]
	v_fma_f64 v[195:196], v[82:83], s[0:1], v[103:104]
	v_fma_f64 v[103:104], v[82:83], s[0:1], -v[103:104]
	v_add_f64 v[101:102], v[101:102], v[153:154]
	s_add_u32 s1, s8, 0x51d0
	v_add_f64 v[97:98], v[195:196], v[97:98]
	v_fma_f64 v[195:196], v[84:85], s[14:15], -v[113:114]
	v_add_f64 v[89:90], v[103:104], v[89:90]
	v_fma_f64 v[103:104], v[84:85], s[14:15], v[113:114]
	v_fma_f64 v[113:114], v[137:138], s[10:11], -v[157:158]
	v_add_f64 v[99:100], v[195:196], v[99:100]
	v_fma_f64 v[195:196], v[86:87], s[14:15], v[115:116]
	v_add_f64 v[101:102], v[103:104], v[101:102]
	v_fma_f64 v[103:104], v[86:87], s[14:15], -v[115:116]
	v_add_f64 v[97:98], v[195:196], v[97:98]
	v_fma_f64 v[195:196], v[93:94], s[4:5], -v[119:120]
	v_add_f64 v[89:90], v[103:104], v[89:90]
	v_fma_f64 v[103:104], v[93:94], s[4:5], v[119:120]
	v_add_f64 v[99:100], v[195:196], v[99:100]
	v_fma_f64 v[195:196], v[95:96], s[4:5], v[121:122]
	v_add_f64 v[101:102], v[103:104], v[101:102]
	v_fma_f64 v[103:104], v[95:96], s[4:5], -v[121:122]
	s_addc_u32 s4, s9, 0
	s_mov_b32 s5, exec_lo
	v_add_f64 v[97:98], v[195:196], v[97:98]
	v_fma_f64 v[195:196], v[117:118], s[6:7], -v[133:134]
	v_add_f64 v[89:90], v[103:104], v[89:90]
	v_fma_f64 v[103:104], v[117:118], s[6:7], v[133:134]
	v_add_f64 v[99:100], v[195:196], v[99:100]
	v_fma_f64 v[195:196], v[123:124], s[6:7], v[139:140]
	v_add_f64 v[101:102], v[103:104], v[101:102]
	v_fma_f64 v[103:104], v[123:124], s[6:7], -v[139:140]
	v_add_f64 v[195:196], v[195:196], v[97:98]
	v_fma_f64 v[97:98], v[135:136], s[10:11], -v[155:156]
	v_add_f64 v[89:90], v[103:104], v[89:90]
	v_fma_f64 v[103:104], v[135:136], s[10:11], v[155:156]
	v_add_f64 v[97:98], v[97:98], v[99:100]
	v_fma_f64 v[99:100], v[137:138], s[10:11], v[157:158]
	v_add_f64 v[101:102], v[103:104], v[101:102]
	v_add_f64 v[103:104], v[113:114], v[89:90]
	;; [unrolled: 1-line block ×3, first 2 shown]
	ds_write_b128 v214, v[4:7] offset:1632
	ds_write_b128 v214, v[8:11] offset:3264
	;; [unrolled: 1-line block ×12, first 2 shown]
	ds_write_b128 v214, v[36:39]
	s_waitcnt lgkmcnt(0)
	s_barrier
	buffer_gl0_inv
	ds_read_b128 v[4:7], v91
	s_clause 0x1
	buffer_load_dword v0, off, s[56:59], 0 offset:8
	buffer_load_dword v17, off, s[56:59], 0 offset:12
                                        ; implicit-def: $vgpr2_vgpr3
                                        ; implicit-def: $vgpr8_vgpr9
                                        ; implicit-def: $vgpr10_vgpr11
	s_waitcnt vmcnt(0)
	v_sub_nc_u32_e32 v12, v17, v0
	v_cmpx_ne_u32_e32 0, v88
	s_xor_b32 s5, exec_lo, s5
	s_cbranch_execz .LBB0_19
; %bb.18:
	v_mov_b32_e32 v89, 0
	v_lshlrev_b64 v[0:1], 4, v[88:89]
	v_add_co_u32 v0, s0, s1, v0
	v_add_co_ci_u32_e64 v1, s0, s4, v1, s0
	global_load_dwordx4 v[13:16], v[0:1], off
	ds_read_b128 v[0:3], v12 offset:21216
	s_waitcnt lgkmcnt(0)
	v_add_f64 v[8:9], v[4:5], -v[0:1]
	v_add_f64 v[10:11], v[6:7], v[2:3]
	v_add_f64 v[2:3], v[6:7], -v[2:3]
	v_add_f64 v[0:1], v[4:5], v[0:1]
	v_mul_f64 v[6:7], v[8:9], 0.5
	v_mul_f64 v[4:5], v[10:11], 0.5
	;; [unrolled: 1-line block ×3, first 2 shown]
	s_waitcnt vmcnt(0)
	v_mul_f64 v[8:9], v[6:7], v[15:16]
	v_fma_f64 v[10:11], v[4:5], v[15:16], v[2:3]
	v_fma_f64 v[2:3], v[4:5], v[15:16], -v[2:3]
	v_fma_f64 v[17:18], v[0:1], 0.5, v[8:9]
	v_fma_f64 v[0:1], v[0:1], 0.5, -v[8:9]
	v_fma_f64 v[8:9], -v[13:14], v[6:7], v[10:11]
	v_mov_b32_e32 v10, v88
	v_fma_f64 v[2:3], -v[13:14], v[6:7], v[2:3]
	v_mov_b32_e32 v11, v89
	v_fma_f64 v[15:16], v[4:5], v[13:14], v[17:18]
	v_fma_f64 v[0:1], -v[4:5], v[13:14], v[0:1]
                                        ; implicit-def: $vgpr4_vgpr5
                                        ; implicit-def: $vgpr17
	ds_write_b64 v91, v[15:16]
.LBB0_19:
	s_andn2_saveexec_b32 s0, s5
	s_cbranch_execz .LBB0_21
; %bb.20:
	ds_read_b64 v[13:14], v17 offset:10616
	s_waitcnt lgkmcnt(1)
	v_add_f64 v[15:16], v[4:5], v[6:7]
	v_add_f64 v[0:1], v[4:5], -v[6:7]
	v_mov_b32_e32 v8, 0
	v_mov_b32_e32 v9, 0
	;; [unrolled: 1-line block ×6, first 2 shown]
	s_waitcnt lgkmcnt(0)
	v_xor_b32_e32 v14, 0x80000000, v14
	ds_write_b64 v91, v[15:16]
	ds_write_b64 v17, v[13:14] offset:10616
.LBB0_21:
	s_or_b32 exec_lo, exec_lo, s0
	s_waitcnt lgkmcnt(0)
	v_lshlrev_b64 v[4:5], 4, v[10:11]
	v_add_co_u32 v6, s0, s1, v4
	v_add_co_ci_u32_e64 v7, s0, s4, v5, s0
	s_mov_b32 s1, exec_lo
	v_add_co_u32 v10, s0, 0x800, v6
	global_load_dwordx4 v[13:16], v[6:7], off offset:1632
	v_add_co_ci_u32_e64 v11, s0, 0, v7, s0
	v_add_co_u32 v21, s0, 0x1000, v6
	v_add_co_ci_u32_e64 v22, s0, 0, v7, s0
	global_load_dwordx4 v[17:20], v[10:11], off offset:1216
	ds_write_b64 v91, v[8:9] offset:8
	ds_write_b128 v12, v[0:3] offset:21216
	ds_read_b128 v[0:3], v91 offset:1632
	ds_read_b128 v[8:11], v12 offset:19584
	global_load_dwordx4 v[21:24], v[21:22], off offset:800
	s_waitcnt lgkmcnt(0)
	v_add_f64 v[25:26], v[0:1], -v[8:9]
	v_add_f64 v[27:28], v[2:3], v[10:11]
	v_add_f64 v[2:3], v[2:3], -v[10:11]
	v_add_f64 v[0:1], v[0:1], v[8:9]
	v_mul_f64 v[10:11], v[25:26], 0.5
	v_mul_f64 v[25:26], v[27:28], 0.5
	;; [unrolled: 1-line block ×3, first 2 shown]
	s_waitcnt vmcnt(2)
	v_mul_f64 v[8:9], v[10:11], v[15:16]
	v_fma_f64 v[27:28], v[25:26], v[15:16], v[2:3]
	v_fma_f64 v[15:16], v[25:26], v[15:16], -v[2:3]
	v_fma_f64 v[29:30], v[0:1], 0.5, v[8:9]
	v_fma_f64 v[8:9], v[0:1], 0.5, -v[8:9]
	v_fma_f64 v[2:3], -v[13:14], v[10:11], v[27:28]
	v_fma_f64 v[10:11], -v[13:14], v[10:11], v[15:16]
	v_fma_f64 v[0:1], v[25:26], v[13:14], v[29:30]
	v_fma_f64 v[8:9], -v[25:26], v[13:14], v[8:9]
	v_add_co_u32 v25, s0, 0x1800, v6
	v_add_co_ci_u32_e64 v26, s0, 0, v7, s0
	ds_write_b128 v91, v[0:3] offset:1632
	ds_write_b128 v12, v[8:11] offset:19584
	ds_read_b128 v[0:3], v91 offset:3264
	ds_read_b128 v[8:11], v12 offset:17952
	global_load_dwordx4 v[13:16], v[25:26], off offset:384
	s_waitcnt lgkmcnt(0)
	v_add_f64 v[27:28], v[0:1], -v[8:9]
	v_add_f64 v[29:30], v[2:3], v[10:11]
	v_add_f64 v[2:3], v[2:3], -v[10:11]
	v_add_f64 v[0:1], v[0:1], v[8:9]
	v_mul_f64 v[10:11], v[27:28], 0.5
	v_mul_f64 v[27:28], v[29:30], 0.5
	;; [unrolled: 1-line block ×3, first 2 shown]
	s_waitcnt vmcnt(2)
	v_mul_f64 v[8:9], v[10:11], v[19:20]
	v_fma_f64 v[29:30], v[27:28], v[19:20], v[2:3]
	v_fma_f64 v[19:20], v[27:28], v[19:20], -v[2:3]
	v_fma_f64 v[31:32], v[0:1], 0.5, v[8:9]
	v_fma_f64 v[8:9], v[0:1], 0.5, -v[8:9]
	v_fma_f64 v[2:3], -v[17:18], v[10:11], v[29:30]
	v_fma_f64 v[10:11], -v[17:18], v[10:11], v[19:20]
	v_fma_f64 v[0:1], v[27:28], v[17:18], v[31:32]
	v_fma_f64 v[8:9], -v[27:28], v[17:18], v[8:9]
	ds_write_b128 v91, v[0:3] offset:3264
	ds_write_b128 v12, v[8:11] offset:17952
	ds_read_b128 v[0:3], v91 offset:4896
	ds_read_b128 v[8:11], v12 offset:16320
	global_load_dwordx4 v[17:20], v[25:26], off offset:2016
	s_waitcnt lgkmcnt(0)
	v_add_f64 v[25:26], v[0:1], -v[8:9]
	v_add_f64 v[27:28], v[2:3], v[10:11]
	v_add_f64 v[2:3], v[2:3], -v[10:11]
	v_add_f64 v[0:1], v[0:1], v[8:9]
	v_mul_f64 v[10:11], v[25:26], 0.5
	v_mul_f64 v[25:26], v[27:28], 0.5
	;; [unrolled: 1-line block ×3, first 2 shown]
	s_waitcnt vmcnt(2)
	v_mul_f64 v[8:9], v[10:11], v[23:24]
	v_fma_f64 v[27:28], v[25:26], v[23:24], v[2:3]
	v_fma_f64 v[23:24], v[25:26], v[23:24], -v[2:3]
	v_fma_f64 v[29:30], v[0:1], 0.5, v[8:9]
	v_fma_f64 v[8:9], v[0:1], 0.5, -v[8:9]
	v_fma_f64 v[2:3], -v[21:22], v[10:11], v[27:28]
	v_fma_f64 v[10:11], -v[21:22], v[10:11], v[23:24]
	v_fma_f64 v[0:1], v[25:26], v[21:22], v[29:30]
	v_fma_f64 v[8:9], -v[25:26], v[21:22], v[8:9]
	ds_write_b128 v91, v[0:3] offset:4896
	ds_write_b128 v12, v[8:11] offset:16320
	ds_read_b128 v[0:3], v91 offset:6528
	ds_read_b128 v[8:11], v12 offset:14688
	s_waitcnt lgkmcnt(0)
	v_add_f64 v[21:22], v[0:1], -v[8:9]
	v_add_f64 v[23:24], v[2:3], v[10:11]
	v_add_f64 v[2:3], v[2:3], -v[10:11]
	v_add_f64 v[0:1], v[0:1], v[8:9]
	v_mul_f64 v[10:11], v[21:22], 0.5
	v_mul_f64 v[21:22], v[23:24], 0.5
	;; [unrolled: 1-line block ×3, first 2 shown]
	s_waitcnt vmcnt(1)
	v_mul_f64 v[8:9], v[10:11], v[15:16]
	v_fma_f64 v[23:24], v[21:22], v[15:16], v[2:3]
	v_fma_f64 v[15:16], v[21:22], v[15:16], -v[2:3]
	v_fma_f64 v[25:26], v[0:1], 0.5, v[8:9]
	v_fma_f64 v[8:9], v[0:1], 0.5, -v[8:9]
	v_fma_f64 v[2:3], -v[13:14], v[10:11], v[23:24]
	v_fma_f64 v[10:11], -v[13:14], v[10:11], v[15:16]
	v_fma_f64 v[0:1], v[21:22], v[13:14], v[25:26]
	v_fma_f64 v[8:9], -v[21:22], v[13:14], v[8:9]
	ds_write_b128 v91, v[0:3] offset:6528
	ds_write_b128 v12, v[8:11] offset:14688
	ds_read_b128 v[0:3], v91 offset:8160
	ds_read_b128 v[8:11], v12 offset:13056
	s_waitcnt lgkmcnt(0)
	v_add_f64 v[13:14], v[0:1], -v[8:9]
	v_add_f64 v[15:16], v[2:3], v[10:11]
	v_add_f64 v[2:3], v[2:3], -v[10:11]
	v_add_f64 v[0:1], v[0:1], v[8:9]
	v_mul_f64 v[10:11], v[13:14], 0.5
	v_mul_f64 v[13:14], v[15:16], 0.5
	;; [unrolled: 1-line block ×3, first 2 shown]
	s_waitcnt vmcnt(0)
	v_mul_f64 v[8:9], v[10:11], v[19:20]
	v_fma_f64 v[15:16], v[13:14], v[19:20], v[2:3]
	v_fma_f64 v[19:20], v[13:14], v[19:20], -v[2:3]
	v_fma_f64 v[21:22], v[0:1], 0.5, v[8:9]
	v_fma_f64 v[8:9], v[0:1], 0.5, -v[8:9]
	v_fma_f64 v[2:3], -v[17:18], v[10:11], v[15:16]
	v_fma_f64 v[10:11], -v[17:18], v[10:11], v[19:20]
	v_fma_f64 v[0:1], v[13:14], v[17:18], v[21:22]
	v_fma_f64 v[8:9], -v[13:14], v[17:18], v[8:9]
	ds_write_b128 v91, v[0:3] offset:8160
	ds_write_b128 v12, v[8:11] offset:13056
	v_cmpx_gt_u32_e32 51, v88
	s_cbranch_execz .LBB0_23
; %bb.22:
	v_add_co_u32 v0, s0, 0x2000, v6
	v_add_co_ci_u32_e64 v1, s0, 0, v7, s0
	global_load_dwordx4 v[0:3], v[0:1], off offset:1600
	ds_read_b128 v[6:9], v91 offset:9792
	ds_read_b128 v[13:16], v12 offset:11424
	s_waitcnt lgkmcnt(0)
	v_add_f64 v[10:11], v[6:7], -v[13:14]
	v_add_f64 v[17:18], v[8:9], v[15:16]
	v_add_f64 v[8:9], v[8:9], -v[15:16]
	v_add_f64 v[6:7], v[6:7], v[13:14]
	v_mul_f64 v[10:11], v[10:11], 0.5
	v_mul_f64 v[15:16], v[17:18], 0.5
	;; [unrolled: 1-line block ×3, first 2 shown]
	s_waitcnt vmcnt(0)
	v_mul_f64 v[13:14], v[10:11], v[2:3]
	v_fma_f64 v[17:18], v[15:16], v[2:3], v[8:9]
	v_fma_f64 v[2:3], v[15:16], v[2:3], -v[8:9]
	v_fma_f64 v[19:20], v[6:7], 0.5, v[13:14]
	v_fma_f64 v[13:14], v[6:7], 0.5, -v[13:14]
	v_fma_f64 v[8:9], -v[0:1], v[10:11], v[17:18]
	v_fma_f64 v[2:3], -v[0:1], v[10:11], v[2:3]
	v_fma_f64 v[6:7], v[15:16], v[0:1], v[19:20]
	v_fma_f64 v[0:1], -v[15:16], v[0:1], v[13:14]
	ds_write_b128 v91, v[6:9] offset:9792
	ds_write_b128 v12, v[0:3] offset:11424
.LBB0_23:
	s_or_b32 exec_lo, exec_lo, s1
	s_waitcnt lgkmcnt(0)
	s_barrier
	buffer_gl0_inv
	s_and_saveexec_b32 s0, vcc_lo
	s_cbranch_execz .LBB0_26
; %bb.24:
	s_clause 0x1
	buffer_load_dword v0, off, s[56:59], 0
	buffer_load_dword v1, off, s[56:59], 0 offset:4
	ds_read_b128 v[6:9], v91
	ds_read_b128 v[10:13], v91 offset:1632
	ds_read_b128 v[14:17], v91 offset:3264
	ds_read_b128 v[18:21], v91 offset:4896
	ds_read_b128 v[22:25], v91 offset:6528
	s_waitcnt vmcnt(1)
	v_add_co_u32 v0, vcc_lo, s2, v0
	s_waitcnt vmcnt(0)
	v_add_co_ci_u32_e32 v1, vcc_lo, s3, v1, vcc_lo
	v_add_co_u32 v30, vcc_lo, v0, v4
	v_add_co_ci_u32_e32 v31, vcc_lo, v1, v5, vcc_lo
	ds_read_b128 v[2:5], v91 offset:8160
	v_add_co_u32 v26, vcc_lo, 0x800, v30
	v_add_co_ci_u32_e32 v27, vcc_lo, 0, v31, vcc_lo
	v_add_co_u32 v28, vcc_lo, 0x1000, v30
	v_add_co_ci_u32_e32 v29, vcc_lo, 0, v31, vcc_lo
	;; [unrolled: 2-line block ×3, first 2 shown]
	s_waitcnt lgkmcnt(5)
	global_store_dwordx4 v[30:31], v[6:9], off
	s_waitcnt lgkmcnt(4)
	global_store_dwordx4 v[30:31], v[10:13], off offset:1632
	s_waitcnt lgkmcnt(3)
	global_store_dwordx4 v[26:27], v[14:17], off offset:1216
	;; [unrolled: 2-line block ×4, first 2 shown]
	ds_read_b128 v[6:9], v91 offset:9792
	ds_read_b128 v[10:13], v91 offset:11424
	;; [unrolled: 1-line block ×3, first 2 shown]
	s_waitcnt lgkmcnt(3)
	global_store_dwordx4 v[32:33], v[2:5], off offset:2016
	v_add_co_u32 v32, vcc_lo, 0x2000, v30
	v_add_co_ci_u32_e32 v33, vcc_lo, 0, v31, vcc_lo
	v_add_co_u32 v34, vcc_lo, 0x2800, v30
	v_add_co_ci_u32_e32 v35, vcc_lo, 0, v31, vcc_lo
	ds_read_b128 v[2:5], v91 offset:14688
	ds_read_b128 v[18:21], v91 offset:16320
	;; [unrolled: 1-line block ×4, first 2 shown]
	v_add_co_u32 v36, vcc_lo, 0x3000, v30
	v_add_co_ci_u32_e32 v37, vcc_lo, 0, v31, vcc_lo
	s_waitcnt lgkmcnt(6)
	global_store_dwordx4 v[32:33], v[6:9], off offset:1600
	s_waitcnt lgkmcnt(5)
	global_store_dwordx4 v[34:35], v[10:13], off offset:1184
	;; [unrolled: 2-line block ×3, first 2 shown]
	v_add_co_u32 v6, vcc_lo, 0x3800, v30
	v_add_co_ci_u32_e32 v7, vcc_lo, 0, v31, vcc_lo
	v_add_co_u32 v8, vcc_lo, 0x4000, v30
	v_add_co_ci_u32_e32 v9, vcc_lo, 0, v31, vcc_lo
	;; [unrolled: 2-line block ×3, first 2 shown]
	v_cmp_eq_u32_e32 vcc_lo, 0x65, v88
	s_waitcnt lgkmcnt(3)
	global_store_dwordx4 v[6:7], v[2:5], off offset:352
	s_waitcnt lgkmcnt(2)
	global_store_dwordx4 v[6:7], v[18:21], off offset:1984
	;; [unrolled: 2-line block ×4, first 2 shown]
	s_and_b32 exec_lo, exec_lo, vcc_lo
	s_cbranch_execz .LBB0_26
; %bb.25:
	ds_read_b128 v[2:5], v91 offset:19600
	v_add_co_u32 v0, vcc_lo, 0x5000, v0
	v_add_co_ci_u32_e32 v1, vcc_lo, 0, v1, vcc_lo
	s_waitcnt lgkmcnt(0)
	global_store_dwordx4 v[0:1], v[2:5], off offset:736
.LBB0_26:
	s_endpgm
	.section	.rodata,"a",@progbits
	.p2align	6, 0x0
	.amdhsa_kernel fft_rtc_fwd_len1326_factors_17_6_13_wgs_204_tpt_102_halfLds_dp_ip_CI_unitstride_sbrr_R2C_dirReg
		.amdhsa_group_segment_fixed_size 0
		.amdhsa_private_segment_fixed_size 268
		.amdhsa_kernarg_size 88
		.amdhsa_user_sgpr_count 6
		.amdhsa_user_sgpr_private_segment_buffer 1
		.amdhsa_user_sgpr_dispatch_ptr 0
		.amdhsa_user_sgpr_queue_ptr 0
		.amdhsa_user_sgpr_kernarg_segment_ptr 1
		.amdhsa_user_sgpr_dispatch_id 0
		.amdhsa_user_sgpr_flat_scratch_init 0
		.amdhsa_user_sgpr_private_segment_size 0
		.amdhsa_wavefront_size32 1
		.amdhsa_uses_dynamic_stack 0
		.amdhsa_system_sgpr_private_segment_wavefront_offset 1
		.amdhsa_system_sgpr_workgroup_id_x 1
		.amdhsa_system_sgpr_workgroup_id_y 0
		.amdhsa_system_sgpr_workgroup_id_z 0
		.amdhsa_system_sgpr_workgroup_info 0
		.amdhsa_system_vgpr_workitem_id 0
		.amdhsa_next_free_vgpr 256
		.amdhsa_next_free_sgpr 60
		.amdhsa_reserve_vcc 1
		.amdhsa_reserve_flat_scratch 0
		.amdhsa_float_round_mode_32 0
		.amdhsa_float_round_mode_16_64 0
		.amdhsa_float_denorm_mode_32 3
		.amdhsa_float_denorm_mode_16_64 3
		.amdhsa_dx10_clamp 1
		.amdhsa_ieee_mode 1
		.amdhsa_fp16_overflow 0
		.amdhsa_workgroup_processor_mode 1
		.amdhsa_memory_ordered 1
		.amdhsa_forward_progress 0
		.amdhsa_shared_vgpr_count 0
		.amdhsa_exception_fp_ieee_invalid_op 0
		.amdhsa_exception_fp_denorm_src 0
		.amdhsa_exception_fp_ieee_div_zero 0
		.amdhsa_exception_fp_ieee_overflow 0
		.amdhsa_exception_fp_ieee_underflow 0
		.amdhsa_exception_fp_ieee_inexact 0
		.amdhsa_exception_int_div_zero 0
	.end_amdhsa_kernel
	.text
.Lfunc_end0:
	.size	fft_rtc_fwd_len1326_factors_17_6_13_wgs_204_tpt_102_halfLds_dp_ip_CI_unitstride_sbrr_R2C_dirReg, .Lfunc_end0-fft_rtc_fwd_len1326_factors_17_6_13_wgs_204_tpt_102_halfLds_dp_ip_CI_unitstride_sbrr_R2C_dirReg
                                        ; -- End function
	.section	.AMDGPU.csdata,"",@progbits
; Kernel info:
; codeLenInByte = 18788
; NumSgprs: 62
; NumVgprs: 256
; ScratchSize: 268
; MemoryBound: 0
; FloatMode: 240
; IeeeMode: 1
; LDSByteSize: 0 bytes/workgroup (compile time only)
; SGPRBlocks: 7
; VGPRBlocks: 31
; NumSGPRsForWavesPerEU: 62
; NumVGPRsForWavesPerEU: 256
; Occupancy: 4
; WaveLimiterHint : 1
; COMPUTE_PGM_RSRC2:SCRATCH_EN: 1
; COMPUTE_PGM_RSRC2:USER_SGPR: 6
; COMPUTE_PGM_RSRC2:TRAP_HANDLER: 0
; COMPUTE_PGM_RSRC2:TGID_X_EN: 1
; COMPUTE_PGM_RSRC2:TGID_Y_EN: 0
; COMPUTE_PGM_RSRC2:TGID_Z_EN: 0
; COMPUTE_PGM_RSRC2:TIDIG_COMP_CNT: 0
	.text
	.p2alignl 6, 3214868480
	.fill 48, 4, 3214868480
	.type	__hip_cuid_60cc491943734a29,@object ; @__hip_cuid_60cc491943734a29
	.section	.bss,"aw",@nobits
	.globl	__hip_cuid_60cc491943734a29
__hip_cuid_60cc491943734a29:
	.byte	0                               ; 0x0
	.size	__hip_cuid_60cc491943734a29, 1

	.ident	"AMD clang version 19.0.0git (https://github.com/RadeonOpenCompute/llvm-project roc-6.4.0 25133 c7fe45cf4b819c5991fe208aaa96edf142730f1d)"
	.section	".note.GNU-stack","",@progbits
	.addrsig
	.addrsig_sym __hip_cuid_60cc491943734a29
	.amdgpu_metadata
---
amdhsa.kernels:
  - .args:
      - .actual_access:  read_only
        .address_space:  global
        .offset:         0
        .size:           8
        .value_kind:     global_buffer
      - .offset:         8
        .size:           8
        .value_kind:     by_value
      - .actual_access:  read_only
        .address_space:  global
        .offset:         16
        .size:           8
        .value_kind:     global_buffer
      - .actual_access:  read_only
        .address_space:  global
        .offset:         24
        .size:           8
        .value_kind:     global_buffer
      - .offset:         32
        .size:           8
        .value_kind:     by_value
      - .actual_access:  read_only
        .address_space:  global
        .offset:         40
        .size:           8
        .value_kind:     global_buffer
      - .actual_access:  read_only
        .address_space:  global
        .offset:         48
        .size:           8
        .value_kind:     global_buffer
      - .offset:         56
        .size:           4
        .value_kind:     by_value
      - .actual_access:  read_only
        .address_space:  global
        .offset:         64
        .size:           8
        .value_kind:     global_buffer
      - .actual_access:  read_only
        .address_space:  global
        .offset:         72
        .size:           8
        .value_kind:     global_buffer
      - .address_space:  global
        .offset:         80
        .size:           8
        .value_kind:     global_buffer
    .group_segment_fixed_size: 0
    .kernarg_segment_align: 8
    .kernarg_segment_size: 88
    .language:       OpenCL C
    .language_version:
      - 2
      - 0
    .max_flat_workgroup_size: 204
    .name:           fft_rtc_fwd_len1326_factors_17_6_13_wgs_204_tpt_102_halfLds_dp_ip_CI_unitstride_sbrr_R2C_dirReg
    .private_segment_fixed_size: 268
    .sgpr_count:     62
    .sgpr_spill_count: 0
    .symbol:         fft_rtc_fwd_len1326_factors_17_6_13_wgs_204_tpt_102_halfLds_dp_ip_CI_unitstride_sbrr_R2C_dirReg.kd
    .uniform_work_group_size: 1
    .uses_dynamic_stack: false
    .vgpr_count:     256
    .vgpr_spill_count: 66
    .wavefront_size: 32
    .workgroup_processor_mode: 1
amdhsa.target:   amdgcn-amd-amdhsa--gfx1030
amdhsa.version:
  - 1
  - 2
...

	.end_amdgpu_metadata
